;; amdgpu-corpus repo=ROCm/rocFFT kind=compiled arch=gfx906 opt=O3
	.text
	.amdgcn_target "amdgcn-amd-amdhsa--gfx906"
	.amdhsa_code_object_version 6
	.protected	fft_rtc_back_len1925_factors_7_11_5_5_wgs_55_tpt_55_halfLds_half_op_CI_CI_unitstride_sbrr_dirReg ; -- Begin function fft_rtc_back_len1925_factors_7_11_5_5_wgs_55_tpt_55_halfLds_half_op_CI_CI_unitstride_sbrr_dirReg
	.globl	fft_rtc_back_len1925_factors_7_11_5_5_wgs_55_tpt_55_halfLds_half_op_CI_CI_unitstride_sbrr_dirReg
	.p2align	8
	.type	fft_rtc_back_len1925_factors_7_11_5_5_wgs_55_tpt_55_halfLds_half_op_CI_CI_unitstride_sbrr_dirReg,@function
fft_rtc_back_len1925_factors_7_11_5_5_wgs_55_tpt_55_halfLds_half_op_CI_CI_unitstride_sbrr_dirReg: ; @fft_rtc_back_len1925_factors_7_11_5_5_wgs_55_tpt_55_halfLds_half_op_CI_CI_unitstride_sbrr_dirReg
; %bb.0:
	s_load_dwordx4 s[8:11], s[4:5], 0x58
	s_load_dwordx4 s[12:15], s[4:5], 0x0
	;; [unrolled: 1-line block ×3, first 2 shown]
	v_mul_u32_u24_e32 v1, 0x4a8, v0
	v_add_u32_sdwa v10, s6, v1 dst_sel:DWORD dst_unused:UNUSED_PAD src0_sel:DWORD src1_sel:WORD_1
	v_mov_b32_e32 v8, 0
	s_waitcnt lgkmcnt(0)
	v_cmp_lt_u64_e64 s[0:1], s[14:15], 2
	v_mov_b32_e32 v1, 0
	v_mov_b32_e32 v11, v8
	s_and_b64 vcc, exec, s[0:1]
	v_mov_b32_e32 v2, 0
	s_cbranch_vccnz .LBB0_8
; %bb.1:
	s_load_dwordx2 s[0:1], s[4:5], 0x10
	s_add_u32 s2, s18, 8
	s_addc_u32 s3, s19, 0
	s_add_u32 s6, s16, 8
	v_mov_b32_e32 v1, 0
	s_addc_u32 s7, s17, 0
	v_mov_b32_e32 v2, 0
	s_waitcnt lgkmcnt(0)
	s_add_u32 s20, s0, 8
	v_mov_b32_e32 v5, v2
	s_addc_u32 s21, s1, 0
	s_mov_b64 s[22:23], 1
	v_mov_b32_e32 v4, v1
.LBB0_2:                                ; =>This Inner Loop Header: Depth=1
	s_load_dwordx2 s[24:25], s[20:21], 0x0
                                        ; implicit-def: $vgpr6_vgpr7
	s_waitcnt lgkmcnt(0)
	v_or_b32_e32 v9, s25, v11
	v_cmp_ne_u64_e32 vcc, 0, v[8:9]
	s_and_saveexec_b64 s[0:1], vcc
	s_xor_b64 s[26:27], exec, s[0:1]
	s_cbranch_execz .LBB0_4
; %bb.3:                                ;   in Loop: Header=BB0_2 Depth=1
	v_cvt_f32_u32_e32 v3, s24
	v_cvt_f32_u32_e32 v6, s25
	s_sub_u32 s0, 0, s24
	s_subb_u32 s1, 0, s25
	v_mac_f32_e32 v3, 0x4f800000, v6
	v_rcp_f32_e32 v3, v3
	v_mul_f32_e32 v3, 0x5f7ffffc, v3
	v_mul_f32_e32 v6, 0x2f800000, v3
	v_trunc_f32_e32 v6, v6
	v_mac_f32_e32 v3, 0xcf800000, v6
	v_cvt_u32_f32_e32 v6, v6
	v_cvt_u32_f32_e32 v3, v3
	v_mul_lo_u32 v7, s0, v6
	v_mul_hi_u32 v9, s0, v3
	v_mul_lo_u32 v13, s1, v3
	v_mul_lo_u32 v12, s0, v3
	v_add_u32_e32 v7, v9, v7
	v_add_u32_e32 v7, v7, v13
	v_mul_hi_u32 v9, v3, v12
	v_mul_lo_u32 v13, v3, v7
	v_mul_hi_u32 v15, v3, v7
	v_mul_hi_u32 v14, v6, v12
	v_mul_lo_u32 v12, v6, v12
	v_mul_hi_u32 v16, v6, v7
	v_add_co_u32_e32 v9, vcc, v9, v13
	v_addc_co_u32_e32 v13, vcc, 0, v15, vcc
	v_mul_lo_u32 v7, v6, v7
	v_add_co_u32_e32 v9, vcc, v9, v12
	v_addc_co_u32_e32 v9, vcc, v13, v14, vcc
	v_addc_co_u32_e32 v12, vcc, 0, v16, vcc
	v_add_co_u32_e32 v7, vcc, v9, v7
	v_addc_co_u32_e32 v9, vcc, 0, v12, vcc
	v_add_co_u32_e32 v3, vcc, v3, v7
	v_addc_co_u32_e32 v6, vcc, v6, v9, vcc
	v_mul_lo_u32 v7, s0, v6
	v_mul_hi_u32 v9, s0, v3
	v_mul_lo_u32 v12, s1, v3
	v_mul_lo_u32 v13, s0, v3
	v_add_u32_e32 v7, v9, v7
	v_add_u32_e32 v7, v7, v12
	v_mul_lo_u32 v14, v3, v7
	v_mul_hi_u32 v15, v3, v13
	v_mul_hi_u32 v16, v3, v7
	v_mul_hi_u32 v12, v6, v13
	v_mul_lo_u32 v13, v6, v13
	v_mul_hi_u32 v9, v6, v7
	v_add_co_u32_e32 v14, vcc, v15, v14
	v_addc_co_u32_e32 v15, vcc, 0, v16, vcc
	v_mul_lo_u32 v7, v6, v7
	v_add_co_u32_e32 v13, vcc, v14, v13
	v_addc_co_u32_e32 v12, vcc, v15, v12, vcc
	v_addc_co_u32_e32 v9, vcc, 0, v9, vcc
	v_add_co_u32_e32 v7, vcc, v12, v7
	v_addc_co_u32_e32 v9, vcc, 0, v9, vcc
	v_add_co_u32_e32 v3, vcc, v3, v7
	v_addc_co_u32_e32 v9, vcc, v6, v9, vcc
	v_mad_u64_u32 v[6:7], s[0:1], v10, v9, 0
	v_mul_hi_u32 v12, v10, v3
	v_add_co_u32_e32 v14, vcc, v12, v6
	v_addc_co_u32_e32 v15, vcc, 0, v7, vcc
	v_mad_u64_u32 v[6:7], s[0:1], v11, v3, 0
	v_mad_u64_u32 v[12:13], s[0:1], v11, v9, 0
	v_add_co_u32_e32 v3, vcc, v14, v6
	v_addc_co_u32_e32 v3, vcc, v15, v7, vcc
	v_addc_co_u32_e32 v6, vcc, 0, v13, vcc
	v_add_co_u32_e32 v3, vcc, v3, v12
	v_addc_co_u32_e32 v9, vcc, 0, v6, vcc
	v_mul_lo_u32 v12, s25, v3
	v_mul_lo_u32 v13, s24, v9
	v_mad_u64_u32 v[6:7], s[0:1], s24, v3, 0
	v_add3_u32 v7, v7, v13, v12
	v_sub_u32_e32 v12, v11, v7
	v_mov_b32_e32 v13, s25
	v_sub_co_u32_e32 v6, vcc, v10, v6
	v_subb_co_u32_e64 v12, s[0:1], v12, v13, vcc
	v_subrev_co_u32_e64 v13, s[0:1], s24, v6
	v_subbrev_co_u32_e64 v12, s[0:1], 0, v12, s[0:1]
	v_cmp_le_u32_e64 s[0:1], s25, v12
	v_cndmask_b32_e64 v14, 0, -1, s[0:1]
	v_cmp_le_u32_e64 s[0:1], s24, v13
	v_cndmask_b32_e64 v13, 0, -1, s[0:1]
	v_cmp_eq_u32_e64 s[0:1], s25, v12
	v_cndmask_b32_e64 v12, v14, v13, s[0:1]
	v_add_co_u32_e64 v13, s[0:1], 2, v3
	v_addc_co_u32_e64 v14, s[0:1], 0, v9, s[0:1]
	v_add_co_u32_e64 v15, s[0:1], 1, v3
	v_addc_co_u32_e64 v16, s[0:1], 0, v9, s[0:1]
	v_subb_co_u32_e32 v7, vcc, v11, v7, vcc
	v_cmp_ne_u32_e64 s[0:1], 0, v12
	v_cmp_le_u32_e32 vcc, s25, v7
	v_cndmask_b32_e64 v12, v16, v14, s[0:1]
	v_cndmask_b32_e64 v14, 0, -1, vcc
	v_cmp_le_u32_e32 vcc, s24, v6
	v_cndmask_b32_e64 v6, 0, -1, vcc
	v_cmp_eq_u32_e32 vcc, s25, v7
	v_cndmask_b32_e32 v6, v14, v6, vcc
	v_cmp_ne_u32_e32 vcc, 0, v6
	v_cndmask_b32_e64 v6, v15, v13, s[0:1]
	v_cndmask_b32_e32 v7, v9, v12, vcc
	v_cndmask_b32_e32 v6, v3, v6, vcc
.LBB0_4:                                ;   in Loop: Header=BB0_2 Depth=1
	s_andn2_saveexec_b64 s[0:1], s[26:27]
	s_cbranch_execz .LBB0_6
; %bb.5:                                ;   in Loop: Header=BB0_2 Depth=1
	v_cvt_f32_u32_e32 v3, s24
	s_sub_i32 s26, 0, s24
	v_rcp_iflag_f32_e32 v3, v3
	v_mul_f32_e32 v3, 0x4f7ffffe, v3
	v_cvt_u32_f32_e32 v3, v3
	v_mul_lo_u32 v6, s26, v3
	v_mul_hi_u32 v6, v3, v6
	v_add_u32_e32 v3, v3, v6
	v_mul_hi_u32 v3, v10, v3
	v_mul_lo_u32 v6, v3, s24
	v_add_u32_e32 v7, 1, v3
	v_sub_u32_e32 v6, v10, v6
	v_subrev_u32_e32 v9, s24, v6
	v_cmp_le_u32_e32 vcc, s24, v6
	v_cndmask_b32_e32 v6, v6, v9, vcc
	v_cndmask_b32_e32 v3, v3, v7, vcc
	v_add_u32_e32 v7, 1, v3
	v_cmp_le_u32_e32 vcc, s24, v6
	v_cndmask_b32_e32 v6, v3, v7, vcc
	v_mov_b32_e32 v7, v8
.LBB0_6:                                ;   in Loop: Header=BB0_2 Depth=1
	s_or_b64 exec, exec, s[0:1]
	v_mul_lo_u32 v3, v7, s24
	v_mul_lo_u32 v9, v6, s25
	v_mad_u64_u32 v[12:13], s[0:1], v6, s24, 0
	s_load_dwordx2 s[0:1], s[6:7], 0x0
	s_load_dwordx2 s[24:25], s[2:3], 0x0
	v_add3_u32 v3, v13, v9, v3
	v_sub_co_u32_e32 v9, vcc, v10, v12
	v_subb_co_u32_e32 v3, vcc, v11, v3, vcc
	s_waitcnt lgkmcnt(0)
	v_mul_lo_u32 v10, s0, v3
	v_mul_lo_u32 v11, s1, v9
	v_mad_u64_u32 v[1:2], s[0:1], s0, v9, v[1:2]
	s_add_u32 s22, s22, 1
	s_addc_u32 s23, s23, 0
	s_add_u32 s2, s2, 8
	v_mul_lo_u32 v3, s24, v3
	v_mul_lo_u32 v12, s25, v9
	v_mad_u64_u32 v[4:5], s[0:1], s24, v9, v[4:5]
	v_add3_u32 v2, v11, v2, v10
	s_addc_u32 s3, s3, 0
	v_mov_b32_e32 v9, s14
	s_add_u32 s6, s6, 8
	v_mov_b32_e32 v10, s15
	s_addc_u32 s7, s7, 0
	v_cmp_ge_u64_e32 vcc, s[22:23], v[9:10]
	s_add_u32 s20, s20, 8
	v_add3_u32 v5, v12, v5, v3
	s_addc_u32 s21, s21, 0
	s_cbranch_vccnz .LBB0_9
; %bb.7:                                ;   in Loop: Header=BB0_2 Depth=1
	v_mov_b32_e32 v11, v7
	v_mov_b32_e32 v10, v6
	s_branch .LBB0_2
.LBB0_8:
	v_mov_b32_e32 v5, v2
	v_mov_b32_e32 v6, v10
	;; [unrolled: 1-line block ×4, first 2 shown]
.LBB0_9:
	s_load_dwordx2 s[0:1], s[4:5], 0x28
	s_lshl_b64 s[6:7], s[14:15], 3
	s_add_u32 s2, s18, s6
	s_addc_u32 s3, s19, s7
                                        ; implicit-def: $sgpr14
                                        ; implicit-def: $vgpr12
	s_waitcnt lgkmcnt(0)
	v_cmp_gt_u64_e32 vcc, s[0:1], v[6:7]
	v_cmp_le_u64_e64 s[0:1], s[0:1], v[6:7]
	s_and_saveexec_b64 s[4:5], s[0:1]
	s_xor_b64 s[0:1], exec, s[4:5]
; %bb.10:
	s_mov_b32 s4, 0x4a7904b
	v_mul_hi_u32 v1, v0, s4
	s_mov_b32 s14, 0
	v_mul_u32_u24_e32 v1, 55, v1
	v_sub_u32_e32 v12, v0, v1
                                        ; implicit-def: $vgpr0
                                        ; implicit-def: $vgpr1_vgpr2
; %bb.11:
	s_or_saveexec_b64 s[4:5], s[0:1]
	v_mov_b32_e32 v70, s14
	v_mov_b32_e32 v50, s14
	;; [unrolled: 1-line block ×20, first 2 shown]
                                        ; implicit-def: $vgpr74
                                        ; implicit-def: $vgpr75
                                        ; implicit-def: $vgpr52
                                        ; implicit-def: $vgpr76
                                        ; implicit-def: $vgpr69
                                        ; implicit-def: $vgpr77
                                        ; implicit-def: $vgpr72
                                        ; implicit-def: $vgpr71
                                        ; implicit-def: $vgpr80
                                        ; implicit-def: $vgpr68
                                        ; implicit-def: $vgpr84
                                        ; implicit-def: $vgpr87
                                        ; implicit-def: $vgpr78
                                        ; implicit-def: $vgpr79
                                        ; implicit-def: $vgpr66
                                        ; implicit-def: $vgpr67
                                        ; implicit-def: $vgpr51
                                        ; implicit-def: $vgpr53
                                        ; implicit-def: $vgpr16
                                        ; implicit-def: $vgpr28
	s_xor_b64 exec, exec, s[4:5]
	s_cbranch_execz .LBB0_13
; %bb.12:
	s_add_u32 s0, s16, s6
	s_addc_u32 s1, s17, s7
	s_load_dwordx2 s[0:1], s[0:1], 0x0
	s_mov_b32 s6, 0x4a7904b
	v_mul_hi_u32 v3, v0, s6
	s_waitcnt lgkmcnt(0)
	v_mul_lo_u32 v10, s1, v6
	v_mul_lo_u32 v11, s0, v7
	v_mad_u64_u32 v[8:9], s[0:1], s0, v6, 0
	v_mul_u32_u24_e32 v3, 55, v3
	v_sub_u32_e32 v12, v0, v3
	v_add3_u32 v9, v9, v11, v10
	v_lshlrev_b64 v[8:9], 2, v[8:9]
	v_mov_b32_e32 v0, s9
	v_add_co_u32_e64 v3, s[0:1], s8, v8
	v_addc_co_u32_e64 v8, s[0:1], v0, v9, s[0:1]
	v_lshlrev_b64 v[0:1], 2, v[1:2]
	v_lshlrev_b32_e32 v2, 2, v12
	v_add_co_u32_e64 v0, s[0:1], v3, v0
	v_addc_co_u32_e64 v1, s[0:1], v8, v1, s[0:1]
	v_add_co_u32_e64 v0, s[0:1], v0, v2
	v_addc_co_u32_e64 v1, s[0:1], 0, v1, s[0:1]
	s_movk_i32 s0, 0x1000
	v_add_co_u32_e64 v18, s[0:1], s0, v0
	global_load_dword v2, v[0:1], off offset:3300
	v_addc_co_u32_e64 v19, s[0:1], 0, v1, s[0:1]
	global_load_dword v52, v[18:19], off offset:2724
	global_load_dword v60, v[0:1], off offset:1320
	;; [unrolled: 1-line block ×3, first 2 shown]
	global_load_dword v50, v[0:1], off
	global_load_dword v15, v[0:1], off offset:220
	global_load_dword v14, v[0:1], off offset:440
	;; [unrolled: 1-line block ×26, first 2 shown]
                                        ; kill: killed $vgpr0 killed $vgpr1
	global_load_dword v17, v[18:19], off offset:304
	s_nop 0
	global_load_dword v0, v[18:19], off offset:84
	global_load_dword v72, v[18:19], off offset:3384
	;; [unrolled: 1-line block ×3, first 2 shown]
	s_mov_b32 s0, 0x5040100
	s_mov_b32 s1, 0x7060302
	s_waitcnt vmcnt(22)
	v_perm_b32 v79, v52, v16, s1
	s_waitcnt vmcnt(16)
	v_lshrrev_b32_e32 v74, 16, v22
	s_waitcnt vmcnt(15)
	v_lshrrev_b32_e32 v75, 16, v23
	;; [unrolled: 2-line block ×4, first 2 shown]
	v_perm_b32 v78, v23, v16, s0
	s_waitcnt vmcnt(11)
	v_lshrrev_b32_e32 v77, 16, v26
	v_perm_b32 v66, v24, v20, s0
	s_waitcnt vmcnt(10)
	v_perm_b32 v67, v71, v20, s1
	v_perm_b32 v51, v25, v21, s0
	s_waitcnt vmcnt(9)
	v_perm_b32 v53, v69, v21, s1
	v_perm_b32 v84, v22, v2, s0
	;; [unrolled: 1-line block ×3, first 2 shown]
	s_waitcnt vmcnt(2)
	v_perm_b32 v16, v26, v0, s0
	s_waitcnt vmcnt(1)
	v_perm_b32 v28, v72, v0, s1
.LBB0_13:
	s_or_b64 exec, exec, s[4:5]
	s_mov_b32 s1, 0x5040100
	v_perm_b32 v0, v86, v17, s1
	v_add_f16_e32 v1, v68, v70
	v_pk_add_f16 v2, v84, v0
	v_add_f16_sdwa v18, v1, v2 dst_sel:DWORD dst_unused:UNUSED_PAD src0_sel:DWORD src1_sel:WORD_1
	v_sub_f16_e32 v20, v1, v2
	v_alignbit_b32 v1, v1, v2, 16
	s_mov_b32 s5, 0x7060302
	v_pk_add_f16 v1, v2, v1 neg_lo:[0,1] neg_hi:[0,1]
	v_add_f16_e32 v18, v18, v2
	v_perm_b32 v2, v70, v17, s5
	v_sub_f16_sdwa v17, v86, v74 dst_sel:DWORD dst_unused:UNUSED_PAD src0_sel:WORD_1 src1_sel:DWORD
	v_pk_add_f16 v19, v2, v87 neg_lo:[0,1] neg_hi:[0,1]
	v_pack_b32_f16 v21, v17, v19
	v_add_f16_e32 v22, v17, v19
	s_mov_b32 s0, 0x39e02b26
	v_pk_add_f16 v21, v19, v21 neg_lo:[0,1] neg_hi:[0,1]
	v_sub_f16_sdwa v17, v17, v19 dst_sel:DWORD dst_unused:UNUSED_PAD src0_sel:DWORD src1_sel:WORD_1
	v_add_f16_sdwa v22, v19, v22 dst_sel:DWORD dst_unused:UNUSED_PAD src0_sel:WORD_1 src1_sel:DWORD
	v_pk_mul_f16 v23, v1, s0
	v_mul_f16_e32 v19, 0xba52, v20
	v_alignbit_b32 v19, v19, v23, 16
	s_mov_b32 s4, 0xb5743846
	v_mul_f16_e32 v17, 0xbb00, v17
	s_mov_b32 s6, 0xbcab
	v_add_f16_e32 v24, v18, v50
	v_pk_fma_f16 v1, v1, s0, v19 neg_lo:[1,0,0] neg_hi:[1,0,0]
	v_pk_fma_f16 v17, v21, s4, v17 op_sel_hi:[1,1,0] neg_lo:[1,0,0] neg_hi:[1,0,1]
	v_mul_f16_e32 v19, 0xb70e, v22
	v_fma_f16 v25, v18, s6, v24
	v_pk_add_f16 v17, v17, v19 op_sel_hi:[1,0]
	v_pk_add_f16 v1, v1, v25 op_sel_hi:[1,0]
	v_pk_add_f16 v18, v1, v17
	v_pk_add_f16 v1, v1, v17 neg_lo:[0,1] neg_hi:[0,1]
	s_mov_b32 s9, 0xffff
	s_movk_i32 s8, 0x3a52
	v_bfi_b32 v19, s9, v18, v1
	v_alignbit_b32 v18, v1, v18, 16
	v_fma_f16 v1, v20, s8, v23
	v_add_f16_e32 v20, v1, v25
	v_pk_mul_f16 v1, v21, s4
	s_mov_b32 s7, 0xb70e
	v_add_f16_sdwa v1, v1, v1 dst_sel:DWORD dst_unused:UNUSED_PAD src0_sel:WORD_1 src1_sel:DWORD
	v_fma_f16 v21, v22, s7, v1
	v_add_f16_e32 v1, v20, v21
	v_pack_b32_f16 v17, v24, v1
	v_mad_u32_u24 v1, v12, 14, 0
	v_perm_b32 v88, v81, v13, s1
	ds_write_b96 v1, v[17:19]
	v_add_f16_e32 v17, v52, v60
	v_pk_add_f16 v18, v78, v88
	v_add_f16_sdwa v19, v17, v18 dst_sel:DWORD dst_unused:UNUSED_PAD src0_sel:DWORD src1_sel:WORD_1
	v_sub_f16_e32 v22, v17, v18
	v_alignbit_b32 v17, v17, v18, 16
	v_perm_b32 v89, v60, v13, s5
	v_pk_add_f16 v17, v18, v17 neg_lo:[0,1] neg_hi:[0,1]
	v_add_f16_e32 v18, v19, v18
	v_sub_f16_sdwa v13, v81, v75 dst_sel:DWORD dst_unused:UNUSED_PAD src0_sel:WORD_1 src1_sel:DWORD
	v_pk_add_f16 v19, v89, v79 neg_lo:[0,1] neg_hi:[0,1]
	v_pack_b32_f16 v23, v13, v19
	v_add_f16_e32 v24, v13, v19
	v_pk_add_f16 v23, v19, v23 neg_lo:[0,1] neg_hi:[0,1]
	v_sub_f16_sdwa v13, v13, v19 dst_sel:DWORD dst_unused:UNUSED_PAD src0_sel:DWORD src1_sel:WORD_1
	v_add_f16_sdwa v24, v19, v24 dst_sel:DWORD dst_unused:UNUSED_PAD src0_sel:WORD_1 src1_sel:DWORD
	v_mul_f16_e32 v19, 0xba52, v22
	v_pk_mul_f16 v25, v17, s0
	v_alignbit_b32 v19, v19, v25, 16
	v_mul_f16_e32 v13, 0xbb00, v13
	v_add_f16_e32 v26, v18, v15
	v_pk_fma_f16 v17, v17, s0, v19 neg_lo:[1,0,0] neg_hi:[1,0,0]
	v_pk_fma_f16 v13, v23, s4, v13 op_sel_hi:[1,1,0] neg_lo:[1,0,0] neg_hi:[1,0,1]
	v_mul_f16_e32 v19, 0xb70e, v24
	v_fma_f16 v27, v18, s6, v26
	v_pk_add_f16 v13, v13, v19 op_sel_hi:[1,0]
	v_pk_add_f16 v17, v17, v27 op_sel_hi:[1,0]
	v_pk_add_f16 v18, v17, v13
	v_pk_add_f16 v13, v17, v13 neg_lo:[0,1] neg_hi:[0,1]
	v_pk_mul_f16 v17, v23, s4
	v_bfi_b32 v19, s9, v18, v13
	v_alignbit_b32 v18, v13, v18, 16
	v_fma_f16 v13, v22, s8, v25
	v_add_f16_sdwa v17, v17, v17 dst_sel:DWORD dst_unused:UNUSED_PAD src0_sel:WORD_1 src1_sel:DWORD
	v_add_f16_e32 v13, v13, v27
	v_fma_f16 v22, v24, s7, v17
	v_add_f16_e32 v17, v13, v22
	v_pack_b32_f16 v17, v26, v17
	v_perm_b32 v90, v82, v11, s1
	ds_write_b96 v1, v[17:19] offset:770
	v_add_f16_e32 v17, v71, v64
	v_pk_add_f16 v18, v66, v90
	v_add_f16_sdwa v19, v17, v18 dst_sel:DWORD dst_unused:UNUSED_PAD src0_sel:DWORD src1_sel:WORD_1
	v_sub_f16_e32 v23, v17, v18
	v_alignbit_b32 v17, v17, v18, 16
	v_perm_b32 v91, v64, v11, s5
	v_pk_add_f16 v17, v18, v17 neg_lo:[0,1] neg_hi:[0,1]
	v_add_f16_e32 v18, v19, v18
	v_sub_f16_sdwa v11, v82, v80 dst_sel:DWORD dst_unused:UNUSED_PAD src0_sel:WORD_1 src1_sel:DWORD
	v_pk_add_f16 v19, v91, v67 neg_lo:[0,1] neg_hi:[0,1]
	v_pack_b32_f16 v24, v11, v19
	v_add_f16_e32 v25, v11, v19
	v_pk_add_f16 v24, v19, v24 neg_lo:[0,1] neg_hi:[0,1]
	v_sub_f16_sdwa v11, v11, v19 dst_sel:DWORD dst_unused:UNUSED_PAD src0_sel:DWORD src1_sel:WORD_1
	v_add_f16_sdwa v25, v19, v25 dst_sel:DWORD dst_unused:UNUSED_PAD src0_sel:WORD_1 src1_sel:DWORD
	v_mul_f16_e32 v19, 0xba52, v23
	v_pk_mul_f16 v26, v17, s0
	v_alignbit_b32 v19, v19, v26, 16
	v_mul_f16_e32 v11, 0xbb00, v11
	v_add_f16_e32 v27, v18, v14
	v_pk_fma_f16 v17, v17, s0, v19 neg_lo:[1,0,0] neg_hi:[1,0,0]
	v_pk_fma_f16 v11, v24, s4, v11 op_sel_hi:[1,1,0] neg_lo:[1,0,0] neg_hi:[1,0,1]
	v_mul_f16_e32 v19, 0xb70e, v25
	v_fma_f16 v29, v18, s6, v27
	v_pk_add_f16 v11, v11, v19 op_sel_hi:[1,0]
	v_pk_add_f16 v17, v17, v29 op_sel_hi:[1,0]
	v_pk_add_f16 v18, v17, v11
	v_pk_add_f16 v11, v17, v11 neg_lo:[0,1] neg_hi:[0,1]
	v_pk_mul_f16 v17, v24, s4
	v_bfi_b32 v19, s9, v18, v11
	v_alignbit_b32 v18, v11, v18, 16
	v_fma_f16 v11, v23, s8, v26
	v_add_f16_sdwa v17, v17, v17 dst_sel:DWORD dst_unused:UNUSED_PAD src0_sel:WORD_1 src1_sel:DWORD
	v_add_f16_e32 v11, v11, v29
	v_fma_f16 v23, v25, s7, v17
	v_add_f16_e32 v17, v11, v23
	v_pack_b32_f16 v17, v27, v17
	v_perm_b32 v92, v83, v10, s1
	ds_write_b96 v1, v[17:19] offset:1540
	v_add_f16_e32 v17, v69, v65
	v_pk_add_f16 v18, v51, v92
	v_add_f16_sdwa v19, v17, v18 dst_sel:DWORD dst_unused:UNUSED_PAD src0_sel:DWORD src1_sel:WORD_1
	v_sub_f16_e32 v24, v17, v18
	v_alignbit_b32 v17, v17, v18, 16
	v_perm_b32 v93, v65, v10, s5
	v_pk_add_f16 v17, v18, v17 neg_lo:[0,1] neg_hi:[0,1]
	v_add_f16_e32 v18, v19, v18
	v_sub_f16_sdwa v10, v83, v76 dst_sel:DWORD dst_unused:UNUSED_PAD src0_sel:WORD_1 src1_sel:DWORD
	v_pk_add_f16 v19, v93, v53 neg_lo:[0,1] neg_hi:[0,1]
	v_pack_b32_f16 v25, v10, v19
	v_add_f16_e32 v26, v10, v19
	v_pk_add_f16 v25, v19, v25 neg_lo:[0,1] neg_hi:[0,1]
	v_sub_f16_sdwa v10, v10, v19 dst_sel:DWORD dst_unused:UNUSED_PAD src0_sel:DWORD src1_sel:WORD_1
	v_add_f16_sdwa v26, v19, v26 dst_sel:DWORD dst_unused:UNUSED_PAD src0_sel:WORD_1 src1_sel:DWORD
	v_mul_f16_e32 v19, 0xba52, v24
	v_pk_mul_f16 v27, v17, s0
	v_alignbit_b32 v19, v19, v27, 16
	v_mul_f16_e32 v10, 0xbb00, v10
	v_add_f16_e32 v29, v18, v9
	v_pk_fma_f16 v17, v17, s0, v19 neg_lo:[1,0,0] neg_hi:[1,0,0]
	v_pk_fma_f16 v10, v25, s4, v10 op_sel_hi:[1,1,0] neg_lo:[1,0,0] neg_hi:[1,0,1]
	v_mul_f16_e32 v19, 0xb70e, v26
	v_fma_f16 v30, v18, s6, v29
	v_pk_add_f16 v10, v10, v19 op_sel_hi:[1,0]
	v_pk_add_f16 v17, v17, v30 op_sel_hi:[1,0]
	v_pk_add_f16 v18, v17, v10
	v_pk_add_f16 v10, v17, v10 neg_lo:[0,1] neg_hi:[0,1]
	v_pk_mul_f16 v17, v25, s4
	v_bfi_b32 v19, s9, v18, v10
	v_alignbit_b32 v18, v10, v18, 16
	v_fma_f16 v10, v24, s8, v27
	v_add_f16_sdwa v17, v17, v17 dst_sel:DWORD dst_unused:UNUSED_PAD src0_sel:WORD_1 src1_sel:DWORD
	v_add_f16_e32 v10, v10, v30
	v_fma_f16 v24, v26, s7, v17
	v_add_f16_e32 v17, v10, v24
	v_pack_b32_f16 v17, v29, v17
	s_waitcnt vmcnt(0)
	v_perm_b32 v94, v85, v8, s1
	ds_write_b96 v1, v[17:19] offset:2310
	v_add_f16_e32 v17, v72, v73
	v_pk_add_f16 v18, v16, v94
	v_add_f16_sdwa v19, v17, v18 dst_sel:DWORD dst_unused:UNUSED_PAD src0_sel:DWORD src1_sel:WORD_1
	v_sub_f16_e32 v25, v17, v18
	v_alignbit_b32 v17, v17, v18, 16
	v_perm_b32 v95, v73, v8, s5
	v_pk_add_f16 v17, v18, v17 neg_lo:[0,1] neg_hi:[0,1]
	v_add_f16_e32 v18, v19, v18
	v_sub_f16_sdwa v8, v85, v77 dst_sel:DWORD dst_unused:UNUSED_PAD src0_sel:WORD_1 src1_sel:DWORD
	v_pk_add_f16 v19, v95, v28 neg_lo:[0,1] neg_hi:[0,1]
	v_pack_b32_f16 v26, v8, v19
	v_add_f16_e32 v27, v8, v19
	v_pk_add_f16 v26, v19, v26 neg_lo:[0,1] neg_hi:[0,1]
	v_sub_f16_sdwa v8, v8, v19 dst_sel:DWORD dst_unused:UNUSED_PAD src0_sel:DWORD src1_sel:WORD_1
	v_add_f16_sdwa v19, v19, v27 dst_sel:DWORD dst_unused:UNUSED_PAD src0_sel:WORD_1 src1_sel:DWORD
	v_mul_f16_e32 v27, 0xba52, v25
	v_pk_mul_f16 v29, v17, s0
	v_alignbit_b32 v27, v27, v29, 16
	v_pk_fma_f16 v17, v17, s0, v27 neg_lo:[1,0,0] neg_hi:[1,0,0]
	v_add_f16_e32 v27, v18, v3
	v_fma_f16 v25, v25, s8, v29
	v_fma_f16 v18, v18, s6, v27
	v_add_f16_e32 v25, v25, v18
	v_pk_add_f16 v17, v17, v18 op_sel_hi:[1,0]
	v_pk_mul_f16 v18, v26, s4
	v_mul_f16_e32 v8, 0xbb00, v8
	v_add_f16_sdwa v18, v18, v18 dst_sel:DWORD dst_unused:UNUSED_PAD src0_sel:WORD_1 src1_sel:DWORD
	v_pk_fma_f16 v8, v26, s4, v8 op_sel_hi:[1,1,0] neg_lo:[1,0,0] neg_hi:[1,0,1]
	v_fma_f16 v26, v19, s7, v18
	v_mul_f16_e32 v18, 0xb70e, v19
	v_pk_add_f16 v8, v8, v18 op_sel_hi:[1,0]
	v_pk_add_f16 v18, v17, v8
	v_pk_add_f16 v8, v17, v8 neg_lo:[0,1] neg_hi:[0,1]
	v_add_f16_e32 v17, v25, v26
	v_pack_b32_f16 v17, v27, v17
	v_bfi_b32 v19, s9, v18, v8
	v_alignbit_b32 v18, v8, v18, 16
	ds_write_b96 v1, v[17:19] offset:3080
	v_sub_f16_e32 v17, v20, v21
	v_sub_f16_e32 v13, v13, v22
	ds_write_b16 v1, v17 offset:12
	ds_write_b16 v1, v13 offset:782
	v_sub_f16_e32 v11, v11, v23
	v_sub_f16_e32 v10, v10, v24
	;; [unrolled: 1-line block ×3, first 2 shown]
	v_lshl_add_u32 v13, v12, 1, 0
	ds_write_b16 v1, v11 offset:1552
	ds_write_b16 v1, v10 offset:2322
	s_load_dwordx2 s[2:3], s[2:3], 0x0
	ds_write_b16 v1, v17 offset:3092
	s_waitcnt lgkmcnt(0)
	; wave barrier
	s_waitcnt lgkmcnt(0)
	ds_read_u16 v24, v13
	ds_read_u16 v10, v13 offset:110
	ds_read_u16 v42, v13 offset:1860
	;; [unrolled: 1-line block ×32, first 2 shown]
	s_mov_b32 s9, 0xbb00
	v_cmp_gt_u32_e64 s[0:1], 10, v12
	v_lshrrev_b32_e32 v8, 16, v8
                                        ; implicit-def: $vgpr27
                                        ; implicit-def: $vgpr22
                                        ; implicit-def: $vgpr19
                                        ; implicit-def: $vgpr18
                                        ; implicit-def: $vgpr38
                                        ; implicit-def: $vgpr34
                                        ; implicit-def: $vgpr31
                                        ; implicit-def: $vgpr25
                                        ; implicit-def: $vgpr20
	s_and_saveexec_b64 s[4:5], s[0:1]
	s_cbranch_execz .LBB0_15
; %bb.14:
	ds_read_u16 v8, v13 offset:330
	ds_read_u16 v17, v13 offset:680
	;; [unrolled: 1-line block ×11, first 2 shown]
.LBB0_15:
	s_or_b64 exec, exec, s[4:5]
	v_sub_f16_e32 v68, v70, v68
	v_add_f16_sdwa v70, v74, v86 dst_sel:DWORD dst_unused:UNUSED_PAD src0_sel:DWORD src1_sel:WORD_1
	v_pk_add_f16 v2, v87, v2
	v_pk_add_f16 v0, v0, v84 neg_lo:[0,1] neg_hi:[0,1]
	v_add_f16_sdwa v74, v2, v70 dst_sel:DWORD dst_unused:UNUSED_PAD src0_sel:WORD_1 src1_sel:DWORD
	v_sub_f16_e32 v52, v60, v52
	v_add_f16_sdwa v60, v75, v81 dst_sel:DWORD dst_unused:UNUSED_PAD src0_sel:DWORD src1_sel:WORD_1
	v_sub_f16_e32 v64, v64, v71
	v_add_f16_sdwa v71, v80, v82 dst_sel:DWORD dst_unused:UNUSED_PAD src0_sel:DWORD src1_sel:WORD_1
	;; [unrolled: 2-line block ×4, first 2 shown]
	v_sub_f16_sdwa v75, v70, v2 dst_sel:DWORD dst_unused:UNUSED_PAD src0_sel:DWORD src1_sel:WORD_1
	v_sub_f16_sdwa v76, v2, v2 dst_sel:DWORD dst_unused:UNUSED_PAD src0_sel:WORD_1 src1_sel:DWORD
	v_sub_f16_e32 v70, v2, v70
	v_add_f16_sdwa v77, v0, v0 dst_sel:DWORD dst_unused:UNUSED_PAD src0_sel:WORD_1 src1_sel:DWORD
	v_sub_f16_sdwa v80, v0, v0 dst_sel:DWORD dst_unused:UNUSED_PAD src0_sel:DWORD src1_sel:WORD_1
	v_add_f16_e32 v2, v74, v2
	v_sub_f16_e32 v81, v68, v0
	v_sub_f16_sdwa v0, v0, v68 dst_sel:DWORD dst_unused:UNUSED_PAD src0_sel:WORD_1 src1_sel:DWORD
	v_add_f16_e32 v68, v68, v77
	v_add_f16_sdwa v50, v2, v50 dst_sel:DWORD dst_unused:UNUSED_PAD src0_sel:DWORD src1_sel:WORD_1
	v_mul_f16_e32 v70, 0x2b26, v70
	v_mul_f16_e32 v77, 0x3846, v80
	s_movk_i32 s4, 0x39e0
	v_mul_f16_e32 v74, 0x3a52, v76
	v_mul_f16_e32 v80, 0xbb00, v0
	v_fma_f16 v2, v2, s6, v50
	v_fma_f16 v76, v76, s8, v70
	v_fma_f16 v70, v75, s4, -v70
	s_mov_b32 s5, 0xb9e0
	s_mov_b32 s14, 0xb574
	v_fma_f16 v0, v0, s9, -v77
	s_movk_i32 s15, 0x3574
	v_fma_f16 v74, v75, s5, -v74
	v_fma_f16 v75, v81, s14, v77
	v_fma_f16 v77, v81, s15, -v80
	v_add_f16_e32 v70, v70, v2
	v_fma_f16 v0, v68, s7, v0
	v_add_f16_e32 v76, v76, v2
	v_add_f16_e32 v2, v74, v2
	v_fma_f16 v74, v68, s7, v75
	v_fma_f16 v68, v68, s7, v77
	v_add_f16_e32 v80, v0, v70
	v_sub_f16_e32 v70, v70, v0
	v_pk_add_f16 v0, v79, v89
	v_sub_f16_e32 v75, v76, v74
	v_sub_f16_e32 v77, v2, v68
	v_add_f16_e32 v2, v68, v2
	v_add_f16_e32 v68, v74, v76
	v_pk_add_f16 v74, v88, v78 neg_lo:[0,1] neg_hi:[0,1]
	v_add_f16_sdwa v76, v0, v60 dst_sel:DWORD dst_unused:UNUSED_PAD src0_sel:WORD_1 src1_sel:DWORD
	v_sub_f16_sdwa v78, v60, v0 dst_sel:DWORD dst_unused:UNUSED_PAD src0_sel:DWORD src1_sel:WORD_1
	v_sub_f16_sdwa v79, v0, v0 dst_sel:DWORD dst_unused:UNUSED_PAD src0_sel:WORD_1 src1_sel:DWORD
	v_sub_f16_e32 v60, v0, v60
	v_add_f16_sdwa v81, v74, v74 dst_sel:DWORD dst_unused:UNUSED_PAD src0_sel:WORD_1 src1_sel:DWORD
	v_sub_f16_sdwa v82, v74, v74 dst_sel:DWORD dst_unused:UNUSED_PAD src0_sel:DWORD src1_sel:WORD_1
	v_sub_f16_e32 v83, v52, v74
	v_sub_f16_sdwa v74, v74, v52 dst_sel:DWORD dst_unused:UNUSED_PAD src0_sel:WORD_1 src1_sel:DWORD
	v_add_f16_e32 v0, v76, v0
	v_add_f16_e32 v52, v52, v81
	v_add_f16_sdwa v76, v0, v15 dst_sel:DWORD dst_unused:UNUSED_PAD src0_sel:DWORD src1_sel:WORD_1
	v_mul_f16_e32 v15, 0x3a52, v79
	v_mul_f16_e32 v60, 0x2b26, v60
	;; [unrolled: 1-line block ×4, first 2 shown]
	v_fma_f16 v0, v0, s6, v76
	v_fma_f16 v79, v79, s8, v60
	v_fma_f16 v60, v78, s4, -v60
	v_fma_f16 v15, v78, s5, -v15
	v_fma_f16 v78, v83, s14, v81
	v_fma_f16 v74, v74, s9, -v81
	v_fma_f16 v81, v83, s15, -v82
	v_add_f16_e32 v79, v79, v0
	v_add_f16_e32 v60, v60, v0
	;; [unrolled: 1-line block ×3, first 2 shown]
	v_fma_f16 v15, v52, s7, v78
	v_fma_f16 v74, v52, s7, v74
	;; [unrolled: 1-line block ×3, first 2 shown]
	v_sub_f16_e32 v81, v0, v52
	v_add_f16_e32 v52, v52, v0
	v_pk_add_f16 v0, v67, v91
	v_sub_f16_e32 v78, v79, v15
	v_add_f16_e32 v82, v74, v60
	v_sub_f16_e32 v60, v60, v74
	v_add_f16_e32 v74, v15, v79
	v_pk_add_f16 v15, v90, v66 neg_lo:[0,1] neg_hi:[0,1]
	v_add_f16_sdwa v66, v0, v71 dst_sel:DWORD dst_unused:UNUSED_PAD src0_sel:WORD_1 src1_sel:DWORD
	v_sub_f16_sdwa v67, v71, v0 dst_sel:DWORD dst_unused:UNUSED_PAD src0_sel:DWORD src1_sel:WORD_1
	v_sub_f16_sdwa v79, v0, v0 dst_sel:DWORD dst_unused:UNUSED_PAD src0_sel:WORD_1 src1_sel:DWORD
	v_sub_f16_e32 v71, v0, v71
	v_add_f16_sdwa v83, v15, v15 dst_sel:DWORD dst_unused:UNUSED_PAD src0_sel:WORD_1 src1_sel:DWORD
	v_sub_f16_sdwa v84, v15, v15 dst_sel:DWORD dst_unused:UNUSED_PAD src0_sel:DWORD src1_sel:WORD_1
	v_sub_f16_e32 v85, v64, v15
	v_sub_f16_sdwa v15, v15, v64 dst_sel:DWORD dst_unused:UNUSED_PAD src0_sel:WORD_1 src1_sel:DWORD
	v_add_f16_e32 v0, v66, v0
	v_add_f16_e32 v64, v64, v83
	v_add_f16_sdwa v66, v0, v14 dst_sel:DWORD dst_unused:UNUSED_PAD src0_sel:DWORD src1_sel:WORD_1
	v_mul_f16_e32 v14, 0x3a52, v79
	v_mul_f16_e32 v71, 0x2b26, v71
	;; [unrolled: 1-line block ×4, first 2 shown]
	v_fma_f16 v0, v0, s6, v66
	v_fma_f16 v79, v79, s8, v71
	v_fma_f16 v71, v67, s4, -v71
	v_fma_f16 v14, v67, s5, -v14
	v_fma_f16 v67, v85, s14, v83
	v_fma_f16 v15, v15, s9, -v83
	v_fma_f16 v83, v85, s15, -v84
	v_add_f16_e32 v79, v79, v0
	v_add_f16_e32 v71, v71, v0
	;; [unrolled: 1-line block ×3, first 2 shown]
	v_fma_f16 v14, v64, s7, v67
	v_fma_f16 v15, v64, s7, v15
	;; [unrolled: 1-line block ×3, first 2 shown]
	v_sub_f16_e32 v83, v0, v64
	v_add_f16_e32 v64, v64, v0
	v_pk_add_f16 v0, v53, v93
	v_sub_f16_e32 v67, v79, v14
	v_add_f16_e32 v84, v15, v71
	v_sub_f16_e32 v71, v71, v15
	v_add_f16_e32 v79, v14, v79
	v_pk_add_f16 v14, v92, v51 neg_lo:[0,1] neg_hi:[0,1]
	v_add_f16_sdwa v15, v0, v69 dst_sel:DWORD dst_unused:UNUSED_PAD src0_sel:WORD_1 src1_sel:DWORD
	v_sub_f16_sdwa v51, v69, v0 dst_sel:DWORD dst_unused:UNUSED_PAD src0_sel:DWORD src1_sel:WORD_1
	v_sub_f16_sdwa v53, v0, v0 dst_sel:DWORD dst_unused:UNUSED_PAD src0_sel:WORD_1 src1_sel:DWORD
	v_sub_f16_e32 v69, v0, v69
	v_add_f16_sdwa v85, v14, v14 dst_sel:DWORD dst_unused:UNUSED_PAD src0_sel:WORD_1 src1_sel:DWORD
	v_sub_f16_sdwa v86, v14, v14 dst_sel:DWORD dst_unused:UNUSED_PAD src0_sel:DWORD src1_sel:WORD_1
	v_sub_f16_e32 v87, v65, v14
	v_sub_f16_sdwa v14, v14, v65 dst_sel:DWORD dst_unused:UNUSED_PAD src0_sel:WORD_1 src1_sel:DWORD
	v_add_f16_e32 v0, v15, v0
	v_add_f16_e32 v15, v65, v85
	v_add_f16_sdwa v9, v0, v9 dst_sel:DWORD dst_unused:UNUSED_PAD src0_sel:DWORD src1_sel:WORD_1
	v_mul_f16_e32 v65, 0x3a52, v53
	v_mul_f16_e32 v69, 0x2b26, v69
	;; [unrolled: 1-line block ×4, first 2 shown]
	v_fma_f16 v0, v0, s6, v9
	v_fma_f16 v53, v53, s8, v69
	v_fma_f16 v69, v51, s4, -v69
	v_fma_f16 v51, v51, s5, -v65
	v_fma_f16 v65, v87, s14, v85
	v_fma_f16 v14, v14, s9, -v85
	v_fma_f16 v85, v87, s15, -v86
	v_add_f16_e32 v53, v53, v0
	v_add_f16_e32 v69, v69, v0
	;; [unrolled: 1-line block ×3, first 2 shown]
	v_fma_f16 v51, v15, s7, v65
	v_fma_f16 v14, v15, s7, v14
	;; [unrolled: 1-line block ×3, first 2 shown]
	v_sub_f16_e32 v85, v0, v15
	v_add_f16_e32 v87, v15, v0
	v_pk_add_f16 v0, v28, v95
	v_add_f16_e32 v86, v14, v69
	v_sub_f16_e32 v69, v69, v14
	v_pk_add_f16 v14, v94, v16 neg_lo:[0,1] neg_hi:[0,1]
	v_add_f16_sdwa v15, v0, v73 dst_sel:DWORD dst_unused:UNUSED_PAD src0_sel:WORD_1 src1_sel:DWORD
	v_sub_f16_e32 v65, v53, v51
	v_add_f16_e32 v51, v51, v53
	v_sub_f16_sdwa v16, v73, v0 dst_sel:DWORD dst_unused:UNUSED_PAD src0_sel:DWORD src1_sel:WORD_1
	v_sub_f16_sdwa v28, v0, v0 dst_sel:DWORD dst_unused:UNUSED_PAD src0_sel:WORD_1 src1_sel:DWORD
	v_sub_f16_e32 v53, v0, v73
	v_add_f16_sdwa v73, v14, v14 dst_sel:DWORD dst_unused:UNUSED_PAD src0_sel:WORD_1 src1_sel:DWORD
	v_sub_f16_sdwa v88, v14, v14 dst_sel:DWORD dst_unused:UNUSED_PAD src0_sel:DWORD src1_sel:WORD_1
	v_sub_f16_e32 v89, v72, v14
	v_sub_f16_sdwa v14, v14, v72 dst_sel:DWORD dst_unused:UNUSED_PAD src0_sel:WORD_1 src1_sel:DWORD
	v_add_f16_e32 v0, v15, v0
	v_add_f16_e32 v15, v72, v73
	v_add_f16_sdwa v3, v0, v3 dst_sel:DWORD dst_unused:UNUSED_PAD src0_sel:DWORD src1_sel:WORD_1
	v_mul_f16_e32 v72, 0x3a52, v28
	v_mul_f16_e32 v53, 0x2b26, v53
	;; [unrolled: 1-line block ×4, first 2 shown]
	v_fma_f16 v0, v0, s6, v3
	v_fma_f16 v28, v28, s8, v53
	v_fma_f16 v53, v16, s4, -v53
	v_fma_f16 v16, v16, s5, -v72
	v_fma_f16 v72, v89, s14, v73
	v_fma_f16 v14, v14, s9, -v73
	v_fma_f16 v73, v89, s15, -v88
	v_add_f16_e32 v28, v28, v0
	v_add_f16_e32 v53, v53, v0
	v_add_f16_e32 v0, v16, v0
	v_fma_f16 v16, v15, s7, v72
	v_fma_f16 v14, v15, s7, v14
	;; [unrolled: 1-line block ×3, first 2 shown]
	v_sub_f16_e32 v72, v28, v16
	v_sub_f16_e32 v73, v0, v15
	v_add_f16_e32 v88, v14, v53
	v_sub_f16_e32 v53, v53, v14
	v_add_f16_e32 v0, v15, v0
	v_add_f16_e32 v105, v16, v28
	v_pack_b32_f16 v16, v70, v2
	v_pack_b32_f16 v15, v77, v80
	;; [unrolled: 1-line block ×3, first 2 shown]
	s_waitcnt lgkmcnt(0)
	; wave barrier
	s_waitcnt lgkmcnt(0)
	ds_write_b96 v1, v[14:16]
	ds_write_b16 v1, v68 offset:12
	v_pack_b32_f16 v16, v60, v52
	v_pack_b32_f16 v15, v81, v82
	v_pack_b32_f16 v14, v76, v78
	ds_write_b96 v1, v[14:16] offset:770
	ds_write_b16 v1, v74 offset:782
	v_pack_b32_f16 v16, v71, v64
	v_pack_b32_f16 v15, v83, v84
	v_pack_b32_f16 v14, v66, v67
	ds_write_b96 v1, v[14:16] offset:1540
	;; [unrolled: 5-line block ×4, first 2 shown]
	ds_write_b16 v1, v105 offset:3092
	s_waitcnt lgkmcnt(0)
	; wave barrier
	s_waitcnt lgkmcnt(0)
	ds_read_u16 v28, v13
	ds_read_u16 v9, v13 offset:110
	ds_read_u16 v66, v13 offset:460
	;; [unrolled: 1-line block ×32, first 2 shown]
                                        ; implicit-def: $vgpr114
                                        ; implicit-def: $vgpr113
                                        ; implicit-def: $vgpr111
                                        ; implicit-def: $vgpr110
                                        ; implicit-def: $vgpr106
                                        ; implicit-def: $vgpr107
                                        ; implicit-def: $vgpr108
                                        ; implicit-def: $vgpr109
                                        ; implicit-def: $vgpr112
	s_and_saveexec_b64 s[4:5], s[0:1]
	s_cbranch_execz .LBB0_17
; %bb.16:
	ds_read_u16 v0, v13 offset:330
	ds_read_u16 v105, v13 offset:680
	ds_read_u16 v114, v13 offset:1030
	ds_read_u16 v113, v13 offset:1380
	ds_read_u16 v111, v13 offset:1730
	ds_read_u16 v110, v13 offset:2080
	ds_read_u16 v112, v13 offset:2430
	ds_read_u16 v109, v13 offset:2780
	ds_read_u16 v108, v13 offset:3130
	ds_read_u16 v107, v13 offset:3480
	ds_read_u16 v106, v13 offset:3830
.LBB0_17:
	s_or_b64 exec, exec, s[4:5]
	v_mov_b32_e32 v1, 37
	v_mul_lo_u16_sdwa v14, v12, v1 dst_sel:DWORD dst_unused:UNUSED_PAD src0_sel:BYTE_0 src1_sel:DWORD
	v_sub_u16_sdwa v15, v12, v14 dst_sel:DWORD dst_unused:UNUSED_PAD src0_sel:DWORD src1_sel:BYTE_1
	v_lshrrev_b16_e32 v15, 1, v15
	v_and_b32_e32 v15, 0x7f, v15
	v_add_u16_sdwa v14, v15, v14 dst_sel:DWORD dst_unused:UNUSED_PAD src0_sel:DWORD src1_sel:BYTE_1
	v_lshrrev_b16_e32 v101, 2, v14
	v_mul_lo_u16_e32 v14, 7, v101
	v_sub_u16_e32 v102, v12, v14
	v_mov_b32_e32 v147, 10
	v_mul_u32_u24_sdwa v14, v102, v147 dst_sel:DWORD dst_unused:UNUSED_PAD src0_sel:BYTE_0 src1_sel:DWORD
	v_lshlrev_b32_e32 v15, 2, v14
	v_add_u32_e32 v14, 55, v12
	v_mul_lo_u16_sdwa v16, v14, v1 dst_sel:DWORD dst_unused:UNUSED_PAD src0_sel:BYTE_0 src1_sel:DWORD
	v_sub_u16_sdwa v79, v14, v16 dst_sel:DWORD dst_unused:UNUSED_PAD src0_sel:DWORD src1_sel:BYTE_1
	v_lshrrev_b16_e32 v79, 1, v79
	v_and_b32_e32 v79, 0x7f, v79
	v_add_u16_sdwa v16, v79, v16 dst_sel:DWORD dst_unused:UNUSED_PAD src0_sel:DWORD src1_sel:BYTE_1
	v_lshrrev_b16_e32 v96, 2, v16
	v_mul_lo_u16_e32 v16, 7, v96
	global_load_dwordx4 v[119:122], v15, s[12:13]
	global_load_dwordx4 v[123:126], v15, s[12:13] offset:16
	v_sub_u16_e32 v98, v14, v16
	global_load_dwordx2 v[99:100], v15, s[12:13] offset:32
	v_mul_u32_u24_sdwa v15, v98, v147 dst_sel:DWORD dst_unused:UNUSED_PAD src0_sel:BYTE_0 src1_sel:DWORD
	v_lshlrev_b32_e32 v79, 2, v15
	global_load_dwordx4 v[127:130], v79, s[12:13]
	global_load_dwordx4 v[131:134], v79, s[12:13] offset:16
	v_add_u32_e32 v15, 0x6e, v12
	v_mul_lo_u16_sdwa v80, v15, v1 dst_sel:DWORD dst_unused:UNUSED_PAD src0_sel:BYTE_0 src1_sel:DWORD
	v_sub_u16_sdwa v81, v15, v80 dst_sel:DWORD dst_unused:UNUSED_PAD src0_sel:DWORD src1_sel:BYTE_1
	v_lshrrev_b16_e32 v81, 1, v81
	v_and_b32_e32 v81, 0x7f, v81
	v_add_u16_sdwa v80, v81, v80 dst_sel:DWORD dst_unused:UNUSED_PAD src0_sel:DWORD src1_sel:BYTE_1
	v_lshrrev_b16_e32 v103, 2, v80
	v_mul_lo_u16_e32 v80, 7, v103
	v_sub_u16_e32 v104, v15, v80
	v_mul_u32_u24_sdwa v80, v104, v147 dst_sel:DWORD dst_unused:UNUSED_PAD src0_sel:BYTE_0 src1_sel:DWORD
	v_lshlrev_b32_e32 v145, 2, v80
	global_load_dwordx2 v[143:144], v79, s[12:13] offset:32
	global_load_dwordx4 v[135:138], v145, s[12:13]
	global_load_dwordx4 v[139:142], v145, s[12:13] offset:16
	v_add_u32_e32 v16, 0xa5, v12
	v_mul_lo_u16_sdwa v1, v16, v1 dst_sel:DWORD dst_unused:UNUSED_PAD src0_sel:BYTE_0 src1_sel:DWORD
	v_sub_u16_sdwa v83, v16, v1 dst_sel:DWORD dst_unused:UNUSED_PAD src0_sel:DWORD src1_sel:BYTE_1
	v_lshrrev_b16_e32 v83, 1, v83
	v_and_b32_e32 v83, 0x7f, v83
	v_add_u16_sdwa v1, v83, v1 dst_sel:DWORD dst_unused:UNUSED_PAD src0_sel:DWORD src1_sel:BYTE_1
	v_lshrrev_b16_e32 v1, 2, v1
	s_movk_i32 s6, 0x3abb
	s_movk_i32 s7, 0x36a6
	s_mov_b32 s8, 0xb08e
	s_mov_b32 s9, 0xb93d
	s_mov_b32 s14, 0xbbad
	v_mul_u32_u24_e32 v101, 0x9a, v101
	s_mov_b32 s20, 0xb853
	s_mov_b32 s16, 0xbb47
	;; [unrolled: 1-line block ×5, first 2 shown]
	s_movk_i32 s23, 0x3482
	s_movk_i32 s17, 0x3beb
	;; [unrolled: 1-line block ×4, first 2 shown]
	s_waitcnt vmcnt(7) lgkmcnt(14)
	v_mul_f16_sdwa v79, v73, v119 dst_sel:DWORD dst_unused:UNUSED_PAD src0_sel:DWORD src1_sel:WORD_1
	v_mul_f16_sdwa v80, v57, v119 dst_sel:DWORD dst_unused:UNUSED_PAD src0_sel:DWORD src1_sel:WORD_1
	;; [unrolled: 1-line block ×4, first 2 shown]
	s_waitcnt vmcnt(6)
	v_mul_f16_sdwa v146, v54, v123 dst_sel:DWORD dst_unused:UNUSED_PAD src0_sel:DWORD src1_sel:WORD_1
	v_mul_f16_sdwa v153, v48, v126 dst_sel:DWORD dst_unused:UNUSED_PAD src0_sel:DWORD src1_sel:WORD_1
	;; [unrolled: 1-line block ×3, first 2 shown]
	v_fma_f16 v95, v57, v119, v79
	v_fma_f16 v97, v73, v119, -v80
	v_fma_f16 v79, v56, v122, v88
	v_fma_f16 v80, v75, v122, -v92
	v_fma_f16 v75, v68, v123, -v146
	;; [unrolled: 1-line block ×3, first 2 shown]
	global_load_dwordx2 v[145:146], v145, s[12:13] offset:32
	v_mul_lo_u16_e32 v3, 7, v1
	v_mul_f16_sdwa v83, v55, v120 dst_sel:DWORD dst_unused:UNUSED_PAD src0_sel:DWORD src1_sel:WORD_1
	s_waitcnt lgkmcnt(12)
	v_mul_f16_sdwa v84, v76, v121 dst_sel:DWORD dst_unused:UNUSED_PAD src0_sel:DWORD src1_sel:WORD_1
	v_mul_f16_sdwa v87, v61, v121 dst_sel:DWORD dst_unused:UNUSED_PAD src0_sel:DWORD src1_sel:WORD_1
	v_sub_u16_e32 v3, v16, v3
	s_waitcnt vmcnt(5)
	v_mul_f16_sdwa v158, v66, v127 dst_sel:DWORD dst_unused:UNUSED_PAD src0_sel:DWORD src1_sel:WORD_1
	v_fma_f16 v90, v69, v120, -v83
	v_fma_f16 v83, v61, v121, v84
	v_fma_f16 v84, v76, v121, -v87
	v_fma_f16 v87, v48, v126, v152
	v_mul_u32_u24_sdwa v48, v3, v147 dst_sel:DWORD dst_unused:UNUSED_PAD src0_sel:BYTE_0 src1_sel:DWORD
	v_mul_f16_sdwa v81, v69, v120 dst_sel:DWORD dst_unused:UNUSED_PAD src0_sel:DWORD src1_sel:WORD_1
	v_mul_f16_sdwa v159, v49, v127 dst_sel:DWORD dst_unused:UNUSED_PAD src0_sel:DWORD src1_sel:WORD_1
	v_fma_f16 v69, v49, v127, v158
	v_lshlrev_b32_e32 v49, 2, v48
	v_fma_f16 v89, v55, v120, v81
	global_load_dwordx4 v[119:122], v49, s[12:13]
	v_mul_f16_sdwa v94, v68, v123 dst_sel:DWORD dst_unused:UNUSED_PAD src0_sel:DWORD src1_sel:WORD_1
	s_waitcnt lgkmcnt(2)
	v_mul_f16_sdwa v154, v91, v99 dst_sel:DWORD dst_unused:UNUSED_PAD src0_sel:DWORD src1_sel:WORD_1
	v_mul_f16_sdwa v155, v63, v99 dst_sel:DWORD dst_unused:UNUSED_PAD src0_sel:DWORD src1_sel:WORD_1
	;; [unrolled: 1-line block ×5, first 2 shown]
	v_fma_f16 v73, v54, v123, v94
	v_fma_f16 v92, v63, v99, v154
	v_fma_f16 v94, v91, v99, -v155
	v_fma_f16 v99, v58, v100, v156
	v_fma_f16 v100, v72, v100, -v157
	v_fma_f16 v72, v66, v127, -v159
	v_fma_f16 v66, v45, v128, v48
	v_mul_f16_sdwa v45, v45, v128 dst_sel:DWORD dst_unused:UNUSED_PAD src0_sel:DWORD src1_sel:WORD_1
	v_mul_f16_sdwa v148, v78, v124 dst_sel:DWORD dst_unused:UNUSED_PAD src0_sel:DWORD src1_sel:WORD_1
	;; [unrolled: 1-line block ×5, first 2 shown]
	v_fma_f16 v68, v60, v128, -v45
	global_load_dwordx2 v[127:128], v49, s[12:13] offset:32
	v_fma_f16 v76, v62, v124, v148
	v_fma_f16 v78, v78, v124, -v149
	v_fma_f16 v81, v59, v125, v150
	v_fma_f16 v82, v82, v125, -v151
	global_load_dwordx4 v[123:126], v49, s[12:13] offset:16
	v_mul_f16_sdwa v45, v53, v129 dst_sel:DWORD dst_unused:UNUSED_PAD src0_sel:DWORD src1_sel:WORD_1
	v_fma_f16 v60, v47, v129, v45
	v_mul_f16_sdwa v45, v47, v129 dst_sel:DWORD dst_unused:UNUSED_PAD src0_sel:DWORD src1_sel:WORD_1
	v_fma_f16 v62, v53, v129, -v45
	v_mul_f16_sdwa v45, v85, v130 dst_sel:DWORD dst_unused:UNUSED_PAD src0_sel:DWORD src1_sel:WORD_1
	v_fma_f16 v53, v46, v130, v45
	v_mul_f16_sdwa v45, v46, v130 dst_sel:DWORD dst_unused:UNUSED_PAD src0_sel:DWORD src1_sel:WORD_1
	v_fma_f16 v55, v85, v130, -v45
	s_waitcnt vmcnt(7)
	v_mul_f16_sdwa v45, v67, v131 dst_sel:DWORD dst_unused:UNUSED_PAD src0_sel:DWORD src1_sel:WORD_1
	v_fma_f16 v48, v42, v131, v45
	v_mul_f16_sdwa v42, v42, v131 dst_sel:DWORD dst_unused:UNUSED_PAD src0_sel:DWORD src1_sel:WORD_1
	v_fma_f16 v56, v67, v131, -v42
	v_mul_f16_sdwa v42, v65, v132 dst_sel:DWORD dst_unused:UNUSED_PAD src0_sel:DWORD src1_sel:WORD_1
	v_fma_f16 v57, v44, v132, v42
	v_mul_f16_sdwa v42, v44, v132 dst_sel:DWORD dst_unused:UNUSED_PAD src0_sel:DWORD src1_sel:WORD_1
	v_fma_f16 v58, v65, v132, -v42
	;; [unrolled: 4-line block ×4, first 2 shown]
	s_waitcnt vmcnt(6)
	v_mul_f16_sdwa v41, v86, v143 dst_sel:DWORD dst_unused:UNUSED_PAD src0_sel:DWORD src1_sel:WORD_1
	v_fma_f16 v85, v40, v143, v41
	v_mul_f16_sdwa v40, v40, v143 dst_sel:DWORD dst_unused:UNUSED_PAD src0_sel:DWORD src1_sel:WORD_1
	v_fma_f16 v86, v86, v143, -v40
	v_mul_f16_sdwa v40, v93, v144 dst_sel:DWORD dst_unused:UNUSED_PAD src0_sel:DWORD src1_sel:WORD_1
	v_fma_f16 v91, v39, v144, v40
	v_mul_f16_sdwa v39, v39, v144 dst_sel:DWORD dst_unused:UNUSED_PAD src0_sel:DWORD src1_sel:WORD_1
	v_fma_f16 v93, v93, v144, -v39
	s_waitcnt vmcnt(5)
	v_mul_f16_sdwa v39, v51, v135 dst_sel:DWORD dst_unused:UNUSED_PAD src0_sel:DWORD src1_sel:WORD_1
	v_fma_f16 v59, v33, v135, v39
	v_mul_f16_sdwa v33, v33, v135 dst_sel:DWORD dst_unused:UNUSED_PAD src0_sel:DWORD src1_sel:WORD_1
	v_fma_f16 v61, v51, v135, -v33
	v_mul_f16_sdwa v33, v118, v136 dst_sel:DWORD dst_unused:UNUSED_PAD src0_sel:DWORD src1_sel:WORD_1
	v_fma_f16 v51, v37, v136, v33
	v_mul_f16_sdwa v33, v37, v136 dst_sel:DWORD dst_unused:UNUSED_PAD src0_sel:DWORD src1_sel:WORD_1
	v_fma_f16 v54, v118, v136, -v33
	;; [unrolled: 4-line block ×4, first 2 shown]
	s_waitcnt vmcnt(4)
	v_mul_f16_sdwa v29, v117, v139 dst_sel:DWORD dst_unused:UNUSED_PAD src0_sel:DWORD src1_sel:WORD_1
	v_fma_f16 v39, v36, v139, v29
	v_mul_f16_sdwa v29, v36, v139 dst_sel:DWORD dst_unused:UNUSED_PAD src0_sel:DWORD src1_sel:WORD_1
	v_fma_f16 v40, v117, v139, -v29
	v_mul_f16_sdwa v29, v115, v140 dst_sel:DWORD dst_unused:UNUSED_PAD src0_sel:DWORD src1_sel:WORD_1
	v_fma_f16 v41, v30, v140, v29
	v_mul_f16_sdwa v29, v30, v140 dst_sel:DWORD dst_unused:UNUSED_PAD src0_sel:DWORD src1_sel:WORD_1
	v_fma_f16 v42, v115, v140, -v29
	;; [unrolled: 4-line block ×3, first 2 shown]
	s_waitcnt lgkmcnt(1)
	v_mul_f16_sdwa v21, v70, v142 dst_sel:DWORD dst_unused:UNUSED_PAD src0_sel:DWORD src1_sel:WORD_1
	v_fma_f16 v50, v32, v142, v21
	v_mul_f16_sdwa v21, v32, v142 dst_sel:DWORD dst_unused:UNUSED_PAD src0_sel:DWORD src1_sel:WORD_1
	v_fma_f16 v52, v70, v142, -v21
	s_waitcnt vmcnt(3)
	v_mul_f16_sdwa v21, v64, v145 dst_sel:DWORD dst_unused:UNUSED_PAD src0_sel:DWORD src1_sel:WORD_1
	v_fma_f16 v63, v23, v145, v21
	v_mul_f16_sdwa v21, v23, v145 dst_sel:DWORD dst_unused:UNUSED_PAD src0_sel:DWORD src1_sel:WORD_1
	v_fma_f16 v64, v64, v145, -v21
	s_waitcnt lgkmcnt(0)
	v_mul_f16_sdwa v21, v71, v146 dst_sel:DWORD dst_unused:UNUSED_PAD src0_sel:DWORD src1_sel:WORD_1
	v_fma_f16 v70, v26, v146, v21
	v_mul_f16_sdwa v21, v26, v146 dst_sel:DWORD dst_unused:UNUSED_PAD src0_sel:DWORD src1_sel:WORD_1
	v_fma_f16 v71, v71, v146, -v21
	s_waitcnt vmcnt(2)
	v_mul_f16_sdwa v21, v105, v119 dst_sel:DWORD dst_unused:UNUSED_PAD src0_sel:DWORD src1_sel:WORD_1
	v_fma_f16 v35, v17, v119, v21
	v_mul_f16_sdwa v17, v17, v119 dst_sel:DWORD dst_unused:UNUSED_PAD src0_sel:DWORD src1_sel:WORD_1
	v_fma_f16 v36, v105, v119, -v17
	v_mul_f16_sdwa v17, v114, v120 dst_sel:DWORD dst_unused:UNUSED_PAD src0_sel:DWORD src1_sel:WORD_1
	v_fma_f16 v30, v27, v120, v17
	v_mul_f16_sdwa v17, v27, v120 dst_sel:DWORD dst_unused:UNUSED_PAD src0_sel:DWORD src1_sel:WORD_1
	v_fma_f16 v32, v114, v120, -v17
	;; [unrolled: 4-line block ×3, first 2 shown]
	v_mul_f16_sdwa v17, v111, v122 dst_sel:DWORD dst_unused:UNUSED_PAD src0_sel:DWORD src1_sel:WORD_1
	s_waitcnt vmcnt(1)
	v_mul_f16_sdwa v37, v106, v128 dst_sel:DWORD dst_unused:UNUSED_PAD src0_sel:DWORD src1_sel:WORD_1
	v_fma_f16 v21, v19, v122, v17
	v_mul_f16_sdwa v17, v19, v122 dst_sel:DWORD dst_unused:UNUSED_PAD src0_sel:DWORD src1_sel:WORD_1
	s_waitcnt vmcnt(0)
	v_mul_f16_sdwa v23, v109, v125 dst_sel:DWORD dst_unused:UNUSED_PAD src0_sel:DWORD src1_sel:WORD_1
	v_mul_f16_sdwa v33, v107, v127 dst_sel:DWORD dst_unused:UNUSED_PAD src0_sel:DWORD src1_sel:WORD_1
	v_fma_f16 v37, v38, v128, v37
	v_mul_f16_sdwa v38, v38, v128 dst_sel:DWORD dst_unused:UNUSED_PAD src0_sel:DWORD src1_sel:WORD_1
	v_fma_f16 v22, v111, v122, -v17
	v_mul_f16_sdwa v17, v110, v123 dst_sel:DWORD dst_unused:UNUSED_PAD src0_sel:DWORD src1_sel:WORD_1
	v_mul_f16_sdwa v19, v112, v124 dst_sel:DWORD dst_unused:UNUSED_PAD src0_sel:DWORD src1_sel:WORD_1
	v_fma_f16 v23, v25, v125, v23
	v_mul_f16_sdwa v25, v25, v125 dst_sel:DWORD dst_unused:UNUSED_PAD src0_sel:DWORD src1_sel:WORD_1
	v_mul_f16_sdwa v29, v108, v126 dst_sel:DWORD dst_unused:UNUSED_PAD src0_sel:DWORD src1_sel:WORD_1
	v_fma_f16 v33, v34, v127, v33
	v_mul_f16_sdwa v34, v34, v127 dst_sel:DWORD dst_unused:UNUSED_PAD src0_sel:DWORD src1_sel:WORD_1
	v_fma_f16 v38, v106, v128, -v38
	v_sub_f16_e32 v106, v97, v100
	v_fma_f16 v17, v18, v123, v17
	v_mul_f16_sdwa v18, v18, v123 dst_sel:DWORD dst_unused:UNUSED_PAD src0_sel:DWORD src1_sel:WORD_1
	v_fma_f16 v19, v20, v124, v19
	v_mul_f16_sdwa v20, v20, v124 dst_sel:DWORD dst_unused:UNUSED_PAD src0_sel:DWORD src1_sel:WORD_1
	v_fma_f16 v25, v109, v125, -v25
	v_fma_f16 v29, v31, v126, v29
	v_mul_f16_sdwa v31, v31, v126 dst_sel:DWORD dst_unused:UNUSED_PAD src0_sel:DWORD src1_sel:WORD_1
	v_fma_f16 v34, v107, v127, -v34
	v_add_f16_e32 v105, v95, v99
	v_mul_f16_e32 v107, 0xb853, v106
	v_mul_f16_e32 v109, 0xbb47, v106
	;; [unrolled: 1-line block ×5, first 2 shown]
	v_sub_f16_e32 v116, v90, v94
	v_fma_f16 v18, v110, v123, -v18
	v_fma_f16 v20, v112, v124, -v20
	;; [unrolled: 1-line block ×3, first 2 shown]
	v_fma_f16 v108, v105, s6, v107
	v_fma_f16 v107, v105, s6, -v107
	v_fma_f16 v110, v105, s7, v109
	v_fma_f16 v109, v105, s7, -v109
	;; [unrolled: 2-line block ×5, first 2 shown]
	v_add_f16_e32 v106, v89, v92
	v_mul_f16_e32 v117, 0xbb47, v116
	v_add_f16_e32 v107, v24, v107
	v_fma_f16 v118, v106, s7, v117
	v_fma_f16 v117, v106, s7, -v117
	v_add_f16_e32 v108, v24, v108
	v_add_f16_e32 v107, v117, v107
	v_mul_f16_e32 v117, 0xba0c, v116
	v_add_f16_e32 v109, v24, v109
	v_add_f16_e32 v108, v118, v108
	v_fma_f16 v118, v106, s9, v117
	v_fma_f16 v117, v106, s9, -v117
	v_add_f16_e32 v110, v24, v110
	v_add_f16_e32 v109, v117, v109
	v_mul_f16_e32 v117, 0x3482, v116
	v_add_f16_e32 v111, v24, v111
	;; [unrolled: 7-line block ×3, first 2 shown]
	v_add_f16_e32 v112, v118, v112
	v_fma_f16 v118, v106, s8, v117
	v_fma_f16 v117, v106, s8, -v117
	v_mul_f16_e32 v116, 0x3853, v116
	v_add_f16_e32 v115, v24, v115
	v_add_f16_e32 v105, v24, v105
	;; [unrolled: 1-line block ×3, first 2 shown]
	v_fma_f16 v117, v106, s6, v116
	v_fma_f16 v106, v106, s6, -v116
	v_sub_f16_e32 v116, v84, v88
	v_add_f16_e32 v114, v24, v114
	v_add_f16_e32 v115, v117, v115
	;; [unrolled: 1-line block ×4, first 2 shown]
	v_mul_f16_e32 v117, 0xbbeb, v116
	v_add_f16_e32 v114, v118, v114
	v_fma_f16 v118, v106, s8, v117
	v_fma_f16 v117, v106, s8, -v117
	v_add_f16_e32 v107, v117, v107
	v_mul_f16_e32 v117, 0x3482, v116
	v_add_f16_e32 v108, v118, v108
	v_fma_f16 v118, v106, s14, v117
	v_fma_f16 v117, v106, s14, -v117
	v_add_f16_e32 v109, v117, v109
	v_mul_f16_e32 v117, 0x3b47, v116
	v_add_f16_e32 v110, v118, v110
	v_fma_f16 v118, v106, s7, v117
	v_fma_f16 v117, v106, s7, -v117
	v_add_f16_e32 v111, v117, v111
	v_mul_f16_e32 v117, 0xb853, v116
	v_add_f16_e32 v112, v118, v112
	v_fma_f16 v118, v106, s6, v117
	v_fma_f16 v117, v106, s6, -v117
	v_mul_f16_e32 v116, 0xba0c, v116
	v_add_f16_e32 v113, v117, v113
	v_fma_f16 v117, v106, s9, v116
	v_fma_f16 v106, v106, s9, -v116
	v_sub_f16_e32 v116, v80, v82
	v_add_f16_e32 v115, v117, v115
	v_add_f16_e32 v105, v106, v105
	v_add_f16_e32 v106, v79, v81
	v_mul_f16_e32 v117, 0xba0c, v116
	v_add_f16_e32 v114, v118, v114
	v_fma_f16 v118, v106, s9, v117
	v_fma_f16 v117, v106, s9, -v117
	v_add_f16_e32 v107, v117, v107
	v_mul_f16_e32 v117, 0x3beb, v116
	v_add_f16_e32 v108, v118, v108
	v_fma_f16 v118, v106, s8, v117
	v_fma_f16 v117, v106, s8, -v117
	v_add_f16_e32 v109, v117, v109
	v_mul_f16_e32 v117, 0xb853, v116
	v_add_f16_e32 v110, v118, v110
	v_fma_f16 v118, v106, s6, v117
	v_fma_f16 v117, v106, s6, -v117
	v_add_f16_e32 v111, v117, v111
	v_mul_f16_e32 v117, 0xb482, v116
	v_add_f16_e32 v112, v118, v112
	v_fma_f16 v118, v106, s14, v117
	v_fma_f16 v117, v106, s14, -v117
	v_mul_f16_e32 v116, 0x3b47, v116
	v_add_f16_e32 v113, v117, v113
	v_fma_f16 v117, v106, s7, v116
	v_fma_f16 v106, v106, s7, -v116
	v_sub_f16_e32 v116, v75, v78
	v_add_f16_e32 v115, v117, v115
	v_add_f16_e32 v105, v106, v105
	v_add_f16_e32 v106, v73, v76
	;; [unrolled: 27-line block ×3, first 2 shown]
	v_mul_f16_e32 v117, 0xb853, v116
	v_mul_f16_e32 v119, 0xbb47, v116
	;; [unrolled: 1-line block ×5, first 2 shown]
	v_sub_f16_e32 v126, v68, v86
	v_add_f16_e32 v114, v118, v114
	v_fma_f16 v118, v105, s6, v117
	v_fma_f16 v117, v105, s6, -v117
	v_fma_f16 v120, v105, s7, v119
	v_fma_f16 v119, v105, s7, -v119
	;; [unrolled: 2-line block ×5, first 2 shown]
	v_add_f16_e32 v116, v66, v85
	v_mul_f16_e32 v127, 0xbb47, v126
	v_fma_f16 v128, v116, s7, v127
	v_add_f16_e32 v117, v10, v117
	v_fma_f16 v127, v116, s7, -v127
	v_add_f16_e32 v118, v10, v118
	v_add_f16_e32 v117, v127, v117
	v_mul_f16_e32 v127, 0xba0c, v126
	v_add_f16_e32 v118, v128, v118
	v_fma_f16 v128, v116, s9, v127
	v_add_f16_e32 v119, v10, v119
	v_fma_f16 v127, v116, s9, -v127
	v_add_f16_e32 v120, v10, v120
	v_add_f16_e32 v119, v127, v119
	v_mul_f16_e32 v127, 0x3482, v126
	v_add_f16_e32 v120, v128, v120
	;; [unrolled: 7-line block ×3, first 2 shown]
	v_fma_f16 v128, v116, s8, v127
	v_add_f16_e32 v123, v10, v123
	v_fma_f16 v127, v116, s8, -v127
	v_mul_f16_e32 v126, 0x3853, v126
	v_add_f16_e32 v123, v127, v123
	v_add_f16_e32 v125, v10, v125
	v_fma_f16 v127, v116, s6, v126
	v_add_f16_e32 v105, v10, v105
	v_fma_f16 v116, v116, s6, -v126
	v_sub_f16_e32 v126, v62, v77
	v_add_f16_e32 v124, v10, v124
	v_add_f16_e32 v125, v127, v125
	;; [unrolled: 1-line block ×4, first 2 shown]
	v_mul_f16_e32 v127, 0xbbeb, v126
	v_add_f16_e32 v124, v128, v124
	v_fma_f16 v128, v116, s8, v127
	v_fma_f16 v127, v116, s8, -v127
	v_add_f16_e32 v117, v127, v117
	v_mul_f16_e32 v127, 0x3482, v126
	v_add_f16_e32 v118, v128, v118
	v_fma_f16 v128, v116, s14, v127
	v_fma_f16 v127, v116, s14, -v127
	v_add_f16_e32 v119, v127, v119
	v_mul_f16_e32 v127, 0x3b47, v126
	v_add_f16_e32 v120, v128, v120
	v_fma_f16 v128, v116, s7, v127
	v_fma_f16 v127, v116, s7, -v127
	v_add_f16_e32 v121, v127, v121
	v_mul_f16_e32 v127, 0xb853, v126
	v_add_f16_e32 v122, v128, v122
	v_fma_f16 v128, v116, s6, v127
	v_fma_f16 v127, v116, s6, -v127
	v_mul_f16_e32 v126, 0xba0c, v126
	v_add_f16_e32 v123, v127, v123
	v_fma_f16 v127, v116, s9, v126
	v_fma_f16 v116, v116, s9, -v126
	v_sub_f16_e32 v126, v55, v67
	v_add_f16_e32 v125, v127, v125
	v_add_f16_e32 v105, v116, v105
	v_add_f16_e32 v116, v53, v65
	v_mul_f16_e32 v127, 0xba0c, v126
	v_add_f16_e32 v124, v128, v124
	v_fma_f16 v128, v116, s9, v127
	v_fma_f16 v127, v116, s9, -v127
	v_add_f16_e32 v117, v127, v117
	v_mul_f16_e32 v127, 0x3beb, v126
	v_add_f16_e32 v118, v128, v118
	v_fma_f16 v128, v116, s8, v127
	v_fma_f16 v127, v116, s8, -v127
	v_add_f16_e32 v119, v127, v119
	v_mul_f16_e32 v127, 0xb853, v126
	v_add_f16_e32 v120, v128, v120
	v_fma_f16 v128, v116, s6, v127
	v_fma_f16 v127, v116, s6, -v127
	v_add_f16_e32 v121, v127, v121
	v_mul_f16_e32 v127, 0xb482, v126
	v_add_f16_e32 v122, v128, v122
	v_fma_f16 v128, v116, s14, v127
	v_fma_f16 v127, v116, s14, -v127
	v_mul_f16_e32 v126, 0x3b47, v126
	v_add_f16_e32 v123, v127, v123
	v_fma_f16 v127, v116, s7, v126
	v_fma_f16 v116, v116, s7, -v126
	v_sub_f16_e32 v126, v56, v58
	v_add_f16_e32 v125, v127, v125
	v_add_f16_e32 v105, v116, v105
	v_add_f16_e32 v116, v48, v57
	;; [unrolled: 27-line block ×3, first 2 shown]
	v_mul_f16_e32 v127, 0xb853, v126
	v_add_f16_e32 v124, v128, v124
	v_fma_f16 v128, v105, s6, v127
	v_mul_f16_e32 v129, 0xbb47, v126
	v_mul_f16_e32 v131, 0xbbeb, v126
	;; [unrolled: 1-line block ×4, first 2 shown]
	v_sub_f16_e32 v136, v54, v64
	v_fma_f16 v127, v105, s6, -v127
	v_fma_f16 v130, v105, s7, v129
	v_fma_f16 v129, v105, s7, -v129
	v_fma_f16 v132, v105, s8, v131
	;; [unrolled: 2-line block ×4, first 2 shown]
	v_fma_f16 v105, v105, s14, -v126
	v_add_f16_e32 v126, v11, v128
	v_add_f16_e32 v128, v51, v63
	v_mul_f16_e32 v137, 0xbb47, v136
	v_fma_f16 v138, v128, s7, v137
	v_add_f16_e32 v127, v11, v127
	v_fma_f16 v137, v128, s7, -v137
	v_add_f16_e32 v127, v137, v127
	v_mul_f16_e32 v137, 0xba0c, v136
	v_add_f16_e32 v126, v138, v126
	v_fma_f16 v138, v128, s9, v137
	v_add_f16_e32 v129, v11, v129
	v_fma_f16 v137, v128, s9, -v137
	v_add_f16_e32 v130, v11, v130
	v_add_f16_e32 v129, v137, v129
	v_mul_f16_e32 v137, 0x3482, v136
	v_add_f16_e32 v130, v138, v130
	v_fma_f16 v138, v128, s14, v137
	v_add_f16_e32 v131, v11, v131
	v_fma_f16 v137, v128, s14, -v137
	v_add_f16_e32 v132, v11, v132
	v_add_f16_e32 v131, v137, v131
	v_mul_f16_e32 v137, 0x3beb, v136
	v_add_f16_e32 v132, v138, v132
	v_fma_f16 v138, v128, s8, v137
	v_add_f16_e32 v133, v11, v133
	v_fma_f16 v137, v128, s8, -v137
	v_mul_f16_e32 v136, 0x3853, v136
	v_add_f16_e32 v133, v137, v133
	v_add_f16_e32 v135, v11, v135
	v_fma_f16 v137, v128, s6, v136
	v_fma_f16 v128, v128, s6, -v136
	v_add_f16_e32 v105, v11, v105
	v_sub_f16_e32 v136, v49, v52
	v_add_f16_e32 v134, v11, v134
	v_add_f16_e32 v135, v137, v135
	;; [unrolled: 1-line block ×4, first 2 shown]
	v_mul_f16_e32 v137, 0xbbeb, v136
	v_add_f16_e32 v134, v138, v134
	v_fma_f16 v138, v128, s8, v137
	v_fma_f16 v137, v128, s8, -v137
	v_add_f16_e32 v127, v137, v127
	v_mul_f16_e32 v137, 0x3482, v136
	v_add_f16_e32 v126, v138, v126
	v_fma_f16 v138, v128, s14, v137
	v_fma_f16 v137, v128, s14, -v137
	v_add_f16_e32 v129, v137, v129
	;; [unrolled: 5-line block ×3, first 2 shown]
	v_mul_f16_e32 v137, 0xb853, v136
	v_add_f16_e32 v132, v138, v132
	v_fma_f16 v138, v128, s6, v137
	v_fma_f16 v137, v128, s6, -v137
	v_mul_f16_e32 v136, 0xba0c, v136
	v_add_f16_e32 v133, v137, v133
	v_fma_f16 v137, v128, s9, v136
	v_fma_f16 v128, v128, s9, -v136
	v_sub_f16_e32 v136, v44, v46
	v_add_f16_e32 v135, v137, v135
	v_add_f16_e32 v105, v128, v105
	;; [unrolled: 1-line block ×3, first 2 shown]
	v_mul_f16_e32 v137, 0xba0c, v136
	v_add_f16_e32 v134, v138, v134
	v_fma_f16 v138, v128, s9, v137
	v_fma_f16 v137, v128, s9, -v137
	v_add_f16_e32 v127, v137, v127
	v_mul_f16_e32 v137, 0x3beb, v136
	v_add_f16_e32 v126, v138, v126
	v_fma_f16 v138, v128, s8, v137
	v_fma_f16 v137, v128, s8, -v137
	v_add_f16_e32 v129, v137, v129
	;; [unrolled: 5-line block ×3, first 2 shown]
	v_mul_f16_e32 v137, 0xb482, v136
	v_add_f16_e32 v132, v138, v132
	v_fma_f16 v138, v128, s14, v137
	v_fma_f16 v137, v128, s14, -v137
	v_mul_f16_e32 v136, 0x3b47, v136
	v_add_f16_e32 v133, v137, v133
	v_fma_f16 v137, v128, s7, v136
	v_fma_f16 v128, v128, s7, -v136
	v_sub_f16_e32 v136, v40, v42
	v_add_f16_e32 v135, v137, v135
	v_add_f16_e32 v105, v128, v105
	;; [unrolled: 1-line block ×3, first 2 shown]
	v_mul_f16_e32 v137, 0xb482, v136
	v_add_f16_e32 v134, v138, v134
	v_fma_f16 v138, v128, s14, v137
	v_fma_f16 v137, v128, s14, -v137
	v_add_f16_e32 v127, v137, v127
	v_mul_f16_e32 v137, 0x3853, v136
	v_add_f16_e32 v24, v24, v95
	v_add_f16_e32 v126, v138, v126
	v_fma_f16 v138, v128, s6, v137
	v_fma_f16 v137, v128, s6, -v137
	v_add_f16_e32 v24, v24, v89
	v_add_f16_e32 v10, v10, v69
	;; [unrolled: 1-line block ×3, first 2 shown]
	v_mul_f16_e32 v137, 0xba0c, v136
	v_add_f16_e32 v24, v24, v83
	v_add_f16_e32 v10, v10, v66
	;; [unrolled: 1-line block ×3, first 2 shown]
	v_fma_f16 v138, v128, s9, v137
	v_fma_f16 v137, v128, s9, -v137
	v_add_f16_e32 v24, v24, v79
	v_add_f16_e32 v10, v10, v60
	;; [unrolled: 1-line block ×3, first 2 shown]
	v_mul_f16_e32 v137, 0x3b47, v136
	v_add_f16_e32 v24, v24, v73
	v_add_f16_e32 v10, v10, v53
	;; [unrolled: 1-line block ×3, first 2 shown]
	v_fma_f16 v138, v128, s7, v137
	v_fma_f16 v137, v128, s7, -v137
	v_mul_f16_e32 v136, 0xbbeb, v136
	v_add_f16_e32 v24, v24, v76
	v_add_f16_e32 v10, v10, v48
	;; [unrolled: 1-line block ×3, first 2 shown]
	v_fma_f16 v137, v128, s8, v136
	v_fma_f16 v128, v128, s8, -v136
	v_add_f16_e32 v24, v24, v81
	v_add_f16_e32 v10, v10, v57
	;; [unrolled: 1-line block ×3, first 2 shown]
	v_mov_b32_e32 v105, 1
	v_add_f16_e32 v24, v24, v87
	v_add_f16_e32 v10, v10, v65
	v_lshlrev_b32_sdwa v102, v105, v102 dst_sel:DWORD dst_unused:UNUSED_PAD src0_sel:DWORD src1_sel:BYTE_0
	v_add_f16_e32 v24, v24, v92
	v_add_f16_e32 v10, v10, v74
	v_add3_u32 v101, 0, v101, v102
	v_add_f16_e32 v24, v24, v99
	v_add_f16_e32 v10, v10, v85
	s_waitcnt lgkmcnt(0)
	; wave barrier
	ds_write_b16 v101, v24
	ds_write_b16 v101, v108 offset:14
	ds_write_b16 v101, v110 offset:28
	;; [unrolled: 1-line block ×7, first 2 shown]
	v_add_f16_e32 v24, v10, v91
	v_add_f16_e32 v10, v11, v59
	;; [unrolled: 1-line block ×11, first 2 shown]
	v_mul_u32_u24_e32 v10, 0x9a, v96
	v_lshlrev_b32_sdwa v11, v105, v98 dst_sel:DWORD dst_unused:UNUSED_PAD src0_sel:DWORD src1_sel:BYTE_0
	v_add3_u32 v10, 0, v10, v11
	ds_write_b16 v101, v111 offset:112
	ds_write_b16 v101, v109 offset:126
	;; [unrolled: 1-line block ×3, first 2 shown]
	ds_write_b16 v10, v24
	ds_write_b16 v10, v118 offset:14
	ds_write_b16 v10, v120 offset:28
	;; [unrolled: 1-line block ×10, first 2 shown]
	v_mul_u32_u24_e32 v11, 0x9a, v103
	v_lshlrev_b32_sdwa v24, v105, v104 dst_sel:DWORD dst_unused:UNUSED_PAD src0_sel:DWORD src1_sel:BYTE_0
	v_add3_u32 v11, 0, v11, v24
	v_add_f16_e32 v134, v138, v134
	v_add_f16_e32 v135, v137, v135
	ds_write_b16 v11, v102
	ds_write_b16 v11, v126 offset:14
	ds_write_b16 v11, v130 offset:28
	;; [unrolled: 1-line block ×10, first 2 shown]
	s_and_saveexec_b64 s[4:5], s[0:1]
	s_cbranch_execz .LBB0_19
; %bb.18:
	v_sub_f16_e32 v98, v36, v38
	v_add_f16_e32 v96, v35, v37
	v_mul_f16_e32 v102, 0xb482, v98
	v_sub_f16_e32 v106, v32, v34
	v_fma_f16 v103, v96, s14, -v102
	v_add_f16_e32 v104, v30, v33
	v_mul_f16_e32 v107, 0x3853, v106
	v_add_f16_e32 v103, v8, v103
	v_fma_f16 v108, v104, s6, -v107
	v_sub_f16_e32 v109, v27, v31
	v_add_f16_e32 v103, v108, v103
	v_add_f16_e32 v108, v26, v29
	v_mul_f16_e32 v110, 0xba0c, v109
	v_fma_f16 v111, v108, s9, -v110
	v_sub_f16_e32 v112, v22, v25
	v_fma_f16 v102, v96, s14, v102
	v_add_f16_e32 v103, v111, v103
	v_add_f16_e32 v111, v21, v23
	v_mul_f16_e32 v113, 0x3b47, v112
	v_add_f16_e32 v102, v8, v102
	v_fma_f16 v107, v104, s6, v107
	v_fma_f16 v114, v111, s7, -v113
	v_sub_f16_e32 v115, v18, v20
	v_add_f16_e32 v102, v107, v102
	v_fma_f16 v107, v108, s9, v110
	v_add_f16_e32 v103, v114, v103
	v_add_f16_e32 v114, v17, v19
	v_mul_f16_e32 v116, 0xbbeb, v115
	v_add_f16_e32 v102, v107, v102
	v_fma_f16 v107, v111, s7, v113
	v_add_f16_e32 v102, v107, v102
	v_fma_f16 v107, v114, s8, v116
	v_add_f16_e32 v102, v107, v102
	v_mul_f16_e32 v107, 0xba0c, v98
	v_fma_f16 v110, v96, s9, -v107
	v_mul_f16_e32 v113, 0x3beb, v106
	v_fma_f16 v117, v114, s8, -v116
	v_add_f16_e32 v110, v8, v110
	v_fma_f16 v116, v104, s8, -v113
	v_add_f16_e32 v110, v116, v110
	v_mul_f16_e32 v116, 0xb853, v109
	v_add_f16_e32 v103, v117, v103
	v_fma_f16 v117, v108, s6, -v116
	v_fma_f16 v107, v96, s9, v107
	v_add_f16_e32 v110, v117, v110
	v_mul_f16_e32 v117, 0xb482, v112
	v_add_f16_e32 v107, v8, v107
	v_fma_f16 v113, v104, s8, v113
	v_fma_f16 v118, v111, s14, -v117
	v_add_f16_e32 v107, v113, v107
	v_fma_f16 v113, v108, s6, v116
	v_add_f16_e32 v110, v118, v110
	v_mul_f16_e32 v118, 0x3b47, v115
	v_add_f16_e32 v107, v113, v107
	v_fma_f16 v113, v111, s14, v117
	v_add_f16_e32 v107, v113, v107
	v_fma_f16 v113, v114, s7, v118
	v_add_f16_e32 v107, v113, v107
	v_mul_f16_e32 v113, 0xbbeb, v98
	v_fma_f16 v116, v96, s8, -v113
	v_mul_f16_e32 v117, 0x3482, v106
	v_fma_f16 v119, v114, s7, -v118
	v_add_f16_e32 v116, v8, v116
	v_fma_f16 v118, v104, s14, -v117
	v_add_f16_e32 v116, v118, v116
	v_mul_f16_e32 v118, 0x3b47, v109
	v_add_f16_e32 v110, v119, v110
	v_fma_f16 v119, v108, s7, -v118
	v_fma_f16 v113, v96, s8, v113
	v_add_f16_e32 v116, v119, v116
	v_mul_f16_e32 v119, 0xb853, v112
	v_add_f16_e32 v113, v8, v113
	v_fma_f16 v117, v104, s14, v117
	v_fma_f16 v120, v111, s6, -v119
	v_add_f16_e32 v113, v117, v113
	v_fma_f16 v117, v108, s7, v118
	v_add_f16_e32 v116, v120, v116
	v_mul_f16_e32 v120, 0xba0c, v115
	v_add_f16_e32 v113, v117, v113
	v_fma_f16 v117, v111, s6, v119
	v_add_f16_e32 v113, v117, v113
	v_fma_f16 v117, v114, s9, v120
	v_add_f16_e32 v113, v117, v113
	v_mul_f16_e32 v117, 0xbb47, v98
	v_fma_f16 v118, v96, s7, -v117
	v_mul_f16_e32 v119, 0xba0c, v106
	v_fma_f16 v121, v114, s9, -v120
	v_add_f16_e32 v118, v8, v118
	v_fma_f16 v120, v104, s9, -v119
	v_add_f16_e32 v118, v120, v118
	v_mul_f16_e32 v120, 0x3482, v109
	v_add_f16_e32 v116, v121, v116
	v_fma_f16 v121, v108, s14, -v120
	v_fma_f16 v117, v96, s7, v117
	v_add_f16_e32 v118, v121, v118
	v_mul_f16_e32 v121, 0x3beb, v112
	v_add_f16_e32 v117, v8, v117
	v_fma_f16 v119, v104, s9, v119
	v_add_f16_e32 v24, v8, v35
	v_fma_f16 v122, v111, s8, -v121
	v_add_f16_e32 v117, v119, v117
	v_fma_f16 v119, v108, s14, v120
	v_add_f16_e32 v24, v24, v30
	v_add_f16_e32 v118, v122, v118
	v_mul_f16_e32 v122, 0x3853, v115
	v_add_f16_e32 v117, v119, v117
	v_fma_f16 v119, v111, s8, v121
	v_add_f16_e32 v24, v24, v26
	v_add_f16_e32 v117, v119, v117
	v_fma_f16 v119, v114, s6, v122
	v_mul_f16_e32 v98, 0xb853, v98
	v_add_f16_e32 v24, v24, v21
	v_add_f16_e32 v117, v119, v117
	v_fma_f16 v119, v96, s6, -v98
	v_mul_f16_e32 v106, 0xbb47, v106
	v_fma_f16 v96, v96, s6, v98
	v_add_f16_e32 v24, v24, v17
	v_add_f16_e32 v119, v8, v119
	v_mul_f16_e32 v109, 0xbbeb, v109
	v_add_f16_e32 v8, v8, v96
	v_fma_f16 v96, v104, s7, v106
	v_add_f16_e32 v24, v24, v19
	v_mul_f16_e32 v112, 0xba0c, v112
	v_add_f16_e32 v8, v96, v8
	v_fma_f16 v96, v108, s8, v109
	v_add_f16_e32 v24, v24, v23
	v_fma_f16 v120, v104, s7, -v106
	v_mul_f16_e32 v115, 0xb482, v115
	v_add_f16_e32 v8, v96, v8
	v_fma_f16 v96, v111, s9, v112
	v_add_f16_e32 v24, v24, v29
	v_add_f16_e32 v119, v120, v119
	v_fma_f16 v120, v108, s8, -v109
	v_add_f16_e32 v8, v96, v8
	v_fma_f16 v96, v114, s14, v115
	v_add_f16_e32 v24, v24, v33
	v_add_f16_e32 v119, v120, v119
	v_fma_f16 v120, v111, s9, -v112
	v_add_f16_e32 v8, v96, v8
	v_mul_u32_u24_e32 v96, 0x9a, v1
	v_lshlrev_b32_sdwa v98, v105, v3 dst_sel:DWORD dst_unused:UNUSED_PAD src0_sel:DWORD src1_sel:BYTE_0
	v_add_f16_e32 v24, v24, v37
	v_fma_f16 v123, v114, s6, -v122
	v_add_f16_e32 v119, v120, v119
	v_fma_f16 v120, v114, s14, -v115
	v_add3_u32 v96, 0, v96, v98
	v_add_f16_e32 v118, v123, v118
	v_add_f16_e32 v119, v120, v119
	ds_write_b16 v96, v24
	ds_write_b16 v96, v8 offset:14
	ds_write_b16 v96, v117 offset:28
	;; [unrolled: 1-line block ×10, first 2 shown]
.LBB0_19:
	s_or_b64 exec, exec, s[4:5]
	v_add_f16_e32 v8, v28, v97
	v_add_f16_e32 v8, v8, v90
	;; [unrolled: 1-line block ×11, first 2 shown]
	v_sub_f16_e32 v95, v95, v99
	v_mul_f16_e32 v96, 0x3abb, v24
	v_mul_f16_e32 v98, 0x36a6, v24
	;; [unrolled: 1-line block ×4, first 2 shown]
	s_movk_i32 s6, 0x3a0c
	v_mul_f16_e32 v24, 0xbbad, v24
	v_fma_f16 v97, v95, s21, v96
	v_fma_f16 v96, v95, s20, v96
	;; [unrolled: 1-line block ×10, first 2 shown]
	v_add_f16_e32 v97, v28, v97
	v_add_f16_e32 v96, v28, v96
	;; [unrolled: 1-line block ×11, first 2 shown]
	v_sub_f16_e32 v89, v89, v92
	v_mul_f16_e32 v90, 0x36a6, v28
	v_fma_f16 v92, v89, s19, v90
	v_fma_f16 v90, v89, s16, v90
	v_mul_f16_e32 v94, 0xb93d, v28
	v_add_f16_e32 v90, v90, v96
	v_fma_f16 v95, v89, s6, v94
	v_fma_f16 v94, v89, s18, v94
	v_mul_f16_e32 v96, 0xbbad, v28
	v_add_f16_e32 v92, v92, v97
	v_add_f16_e32 v94, v94, v98
	v_fma_f16 v97, v89, s22, v96
	v_fma_f16 v96, v89, s23, v96
	v_mul_f16_e32 v98, 0xb08e, v28
	v_mul_f16_e32 v28, 0x3abb, v28
	v_add_f16_e32 v96, v96, v100
	v_fma_f16 v100, v89, s20, v28
	v_fma_f16 v28, v89, s21, v28
	v_add_f16_e32 v24, v28, v24
	v_add_f16_e32 v28, v84, v88
	v_sub_f16_e32 v83, v83, v87
	v_mul_f16_e32 v84, 0xb08e, v28
	v_fma_f16 v87, v83, s17, v84
	v_fma_f16 v84, v83, s15, v84
	v_mul_f16_e32 v88, 0xbbad, v28
	v_add_f16_e32 v95, v95, v99
	v_fma_f16 v99, v89, s15, v98
	v_fma_f16 v98, v89, s17, v98
	v_add_f16_e32 v84, v84, v90
	v_fma_f16 v89, v83, s22, v88
	v_fma_f16 v88, v83, s23, v88
	v_mul_f16_e32 v90, 0x36a6, v28
	v_add_f16_e32 v87, v87, v92
	v_add_f16_e32 v88, v88, v94
	v_fma_f16 v92, v83, s16, v90
	v_fma_f16 v90, v83, s19, v90
	v_mul_f16_e32 v94, 0x3abb, v28
	v_mul_f16_e32 v28, 0xb93d, v28
	v_add_f16_e32 v90, v90, v96
	v_fma_f16 v96, v83, s6, v28
	v_fma_f16 v28, v83, s18, v28
	v_add_f16_e32 v24, v28, v24
	v_add_f16_e32 v28, v80, v82
	v_sub_f16_e32 v79, v79, v81
	v_mul_f16_e32 v80, 0xb93d, v28
	v_fma_f16 v81, v79, s6, v80
	v_fma_f16 v80, v79, s18, v80
	v_mul_f16_e32 v82, 0xb08e, v28
	v_add_f16_e32 v89, v89, v95
	v_fma_f16 v95, v83, s21, v94
	v_fma_f16 v94, v83, s20, v94
	;; [unrolled: 23-line block ×3, first 2 shown]
	v_add_f16_e32 v75, v75, v80
	v_fma_f16 v79, v73, s20, v78
	v_fma_f16 v78, v73, s21, v78
	v_mul_f16_e32 v80, 0xb93d, v28
	v_add_f16_e32 v76, v76, v81
	v_add_f16_e32 v78, v78, v82
	v_fma_f16 v81, v73, s6, v80
	v_fma_f16 v80, v73, s18, v80
	v_mul_f16_e32 v82, 0x36a6, v28
	v_mul_f16_e32 v28, 0xb08e, v28
	v_add_f16_e32 v80, v80, v84
	v_fma_f16 v84, v73, s17, v28
	v_fma_f16 v28, v73, s15, v28
	v_add_f16_e32 v79, v79, v83
	v_fma_f16 v83, v73, s16, v82
	v_fma_f16 v82, v73, s19, v82
	v_add_f16_e32 v73, v28, v24
	v_add_f16_e32 v24, v9, v72
	v_add_f16_e32 v24, v24, v68
	v_add_f16_e32 v24, v24, v62
	v_add_f16_e32 v24, v24, v55
	v_add_f16_e32 v24, v24, v56
	v_add_f16_e32 v24, v24, v58
	v_add_f16_e32 v97, v97, v102
	v_add_f16_e32 v24, v24, v67
	v_add_f16_e32 v98, v98, v103
	v_add_f16_e32 v100, v100, v105
	v_add_f16_e32 v92, v92, v97
	v_add_f16_e32 v24, v24, v77
	v_add_f16_e32 v99, v99, v104
	v_add_f16_e32 v94, v94, v98
	v_add_f16_e32 v96, v96, v100
	v_add_f16_e32 v87, v87, v92
	v_add_f16_e32 v24, v24, v86
	v_add_f16_e32 v95, v95, v99
	v_add_f16_e32 v88, v88, v94
	v_add_f16_e32 v90, v90, v96
	v_add_f16_e32 v81, v81, v87
	v_add_f16_e32 v87, v24, v93
	v_add_f16_e32 v24, v72, v93
	v_add_f16_e32 v89, v89, v95
	v_add_f16_e32 v82, v82, v88
	v_add_f16_e32 v84, v84, v90
	v_sub_f16_e32 v28, v69, v91
	v_mul_f16_e32 v69, 0x3abb, v24
	v_mul_f16_e32 v88, 0x36a6, v24
	;; [unrolled: 1-line block ×5, first 2 shown]
	v_add_f16_e32 v83, v83, v89
	v_fma_f16 v72, v28, s21, v69
	v_fma_f16 v69, v28, s20, v69
	;; [unrolled: 1-line block ×10, first 2 shown]
	v_add_f16_e32 v72, v9, v72
	v_add_f16_e32 v69, v9, v69
	;; [unrolled: 1-line block ×11, first 2 shown]
	v_sub_f16_e32 v28, v66, v85
	v_mul_f16_e32 v66, 0x36a6, v24
	v_fma_f16 v68, v28, s19, v66
	v_fma_f16 v66, v28, s16, v66
	v_add_f16_e32 v66, v66, v69
	v_mul_f16_e32 v69, 0xb93d, v24
	v_add_f16_e32 v68, v68, v72
	v_fma_f16 v72, v28, s6, v69
	v_fma_f16 v69, v28, s18, v69
	v_mul_f16_e32 v85, 0xbbad, v24
	v_add_f16_e32 v69, v69, v88
	v_fma_f16 v86, v28, s22, v85
	v_fma_f16 v85, v28, s23, v85
	v_mul_f16_e32 v88, 0xb08e, v24
	v_mul_f16_e32 v24, 0x3abb, v24
	v_add_f16_e32 v85, v85, v90
	v_fma_f16 v90, v28, s20, v24
	v_fma_f16 v24, v28, s21, v24
	v_add_f16_e32 v9, v24, v9
	v_add_f16_e32 v24, v62, v77
	;; [unrolled: 1-line block ×3, first 2 shown]
	v_fma_f16 v89, v28, s15, v88
	v_fma_f16 v88, v28, s17, v88
	v_sub_f16_e32 v28, v60, v74
	v_mul_f16_e32 v60, 0xb08e, v24
	v_fma_f16 v62, v28, s17, v60
	v_fma_f16 v60, v28, s15, v60
	v_add_f16_e32 v60, v60, v66
	v_mul_f16_e32 v66, 0xbbad, v24
	v_add_f16_e32 v62, v62, v68
	v_fma_f16 v68, v28, s22, v66
	v_fma_f16 v66, v28, s23, v66
	v_add_f16_e32 v66, v66, v69
	v_mul_f16_e32 v69, 0x36a6, v24
	v_add_f16_e32 v68, v68, v72
	v_fma_f16 v72, v28, s16, v69
	v_fma_f16 v69, v28, s19, v69
	v_mul_f16_e32 v74, 0x3abb, v24
	v_mul_f16_e32 v24, 0xb93d, v24
	v_add_f16_e32 v69, v69, v85
	v_fma_f16 v85, v28, s6, v24
	v_fma_f16 v24, v28, s18, v24
	v_add_f16_e32 v9, v24, v9
	v_add_f16_e32 v24, v55, v67
	v_fma_f16 v77, v28, s21, v74
	v_fma_f16 v74, v28, s20, v74
	v_sub_f16_e32 v28, v53, v65
	v_mul_f16_e32 v53, 0xb93d, v24
	v_fma_f16 v55, v28, s6, v53
	v_fma_f16 v53, v28, s18, v53
	v_add_f16_e32 v53, v53, v60
	v_mul_f16_e32 v60, 0xb08e, v24
	v_add_f16_e32 v55, v55, v62
	v_fma_f16 v62, v28, s15, v60
	v_fma_f16 v60, v28, s17, v60
	v_mul_f16_e32 v65, 0x3abb, v24
	v_add_f16_e32 v60, v60, v66
	v_fma_f16 v66, v28, s21, v65
	v_fma_f16 v65, v28, s20, v65
	v_mul_f16_e32 v67, 0xbbad, v24
	v_mul_f16_e32 v24, 0x36a6, v24
	v_add_f16_e32 v65, v65, v69
	v_fma_f16 v69, v28, s16, v24
	v_fma_f16 v24, v28, s19, v24
	v_add_f16_e32 v9, v24, v9
	v_add_f16_e32 v24, v56, v58
	;; [unrolled: 1-line block ×4, first 2 shown]
	v_fma_f16 v68, v28, s23, v67
	v_fma_f16 v67, v28, s22, v67
	v_sub_f16_e32 v28, v48, v57
	v_mul_f16_e32 v48, 0xbbad, v24
	v_add_f16_e32 v74, v74, v88
	v_fma_f16 v56, v28, s23, v48
	v_fma_f16 v48, v28, s22, v48
	v_add_f16_e32 v90, v90, v94
	v_add_f16_e32 v67, v67, v74
	;; [unrolled: 1-line block ×3, first 2 shown]
	v_mul_f16_e32 v48, 0x3abb, v24
	v_add_f16_e32 v89, v89, v93
	v_add_f16_e32 v85, v85, v90
	v_fma_f16 v53, v28, s20, v48
	v_fma_f16 v48, v28, s21, v48
	v_add_f16_e32 v86, v86, v91
	v_add_f16_e32 v77, v77, v89
	;; [unrolled: 1-line block ×4, first 2 shown]
	v_mul_f16_e32 v48, 0xb93d, v24
	v_add_f16_e32 v72, v72, v86
	v_add_f16_e32 v68, v68, v77
	;; [unrolled: 1-line block ×3, first 2 shown]
	v_fma_f16 v53, v28, s6, v48
	v_fma_f16 v48, v28, s18, v48
	v_add_f16_e32 v66, v66, v72
	v_add_f16_e32 v88, v48, v65
	v_mul_f16_e32 v48, 0x36a6, v24
	v_add_f16_e32 v86, v53, v66
	v_fma_f16 v53, v28, s16, v48
	v_fma_f16 v48, v28, s19, v48
	v_mul_f16_e32 v24, 0xb08e, v24
	v_add_f16_e32 v90, v48, v67
	v_fma_f16 v48, v28, s17, v24
	v_fma_f16 v24, v28, s15, v24
	v_add_f16_e32 v9, v24, v9
	v_add_f16_e32 v24, v2, v61
	;; [unrolled: 1-line block ×14, first 2 shown]
	v_sub_f16_e32 v28, v59, v70
	v_mul_f16_e32 v48, 0x3abb, v24
	v_mul_f16_e32 v55, 0x36a6, v24
	;; [unrolled: 1-line block ×5, first 2 shown]
	v_add_f16_e32 v89, v53, v68
	v_fma_f16 v53, v28, s21, v48
	v_fma_f16 v48, v28, s20, v48
	;; [unrolled: 1-line block ×10, first 2 shown]
	v_add_f16_e32 v53, v2, v53
	v_add_f16_e32 v48, v2, v48
	;; [unrolled: 1-line block ×11, first 2 shown]
	v_sub_f16_e32 v28, v51, v63
	v_mul_f16_e32 v51, 0x36a6, v24
	v_fma_f16 v54, v28, s19, v51
	v_fma_f16 v51, v28, s16, v51
	v_add_f16_e32 v48, v51, v48
	v_mul_f16_e32 v51, 0xb93d, v24
	v_add_f16_e32 v53, v54, v53
	v_fma_f16 v54, v28, s6, v51
	v_fma_f16 v51, v28, s18, v51
	v_add_f16_e32 v51, v51, v55
	v_mul_f16_e32 v55, 0xbbad, v24
	v_add_f16_e32 v54, v54, v56
	;; [unrolled: 5-line block ×3, first 2 shown]
	v_fma_f16 v58, v28, s15, v57
	v_fma_f16 v57, v28, s17, v57
	v_mul_f16_e32 v24, 0x3abb, v24
	v_add_f16_e32 v57, v57, v59
	v_fma_f16 v59, v28, s20, v24
	v_fma_f16 v24, v28, s21, v24
	v_add_f16_e32 v2, v24, v2
	v_add_f16_e32 v24, v49, v52
	v_sub_f16_e32 v28, v47, v50
	v_mul_f16_e32 v47, 0xb08e, v24
	v_fma_f16 v49, v28, s17, v47
	v_fma_f16 v47, v28, s15, v47
	v_add_f16_e32 v47, v47, v48
	v_mul_f16_e32 v48, 0xbbad, v24
	v_fma_f16 v50, v28, s22, v48
	v_fma_f16 v48, v28, s23, v48
	v_add_f16_e32 v48, v48, v51
	v_mul_f16_e32 v51, 0x36a6, v24
	v_add_f16_e32 v49, v49, v53
	v_fma_f16 v52, v28, s16, v51
	v_fma_f16 v51, v28, s19, v51
	v_mul_f16_e32 v53, 0x3abb, v24
	v_mul_f16_e32 v24, 0xb93d, v24
	v_add_f16_e32 v51, v51, v55
	v_fma_f16 v55, v28, s6, v24
	v_fma_f16 v24, v28, s18, v24
	v_add_f16_e32 v2, v24, v2
	v_add_f16_e32 v24, v44, v46
	;; [unrolled: 1-line block ×3, first 2 shown]
	v_fma_f16 v54, v28, s21, v53
	v_fma_f16 v53, v28, s20, v53
	v_sub_f16_e32 v28, v43, v45
	v_mul_f16_e32 v43, 0xb93d, v24
	v_fma_f16 v44, v28, s6, v43
	v_fma_f16 v43, v28, s18, v43
	v_mul_f16_e32 v45, 0xb08e, v24
	v_add_f16_e32 v43, v43, v47
	v_fma_f16 v46, v28, s15, v45
	v_fma_f16 v45, v28, s17, v45
	v_mul_f16_e32 v47, 0x3abb, v24
	v_add_f16_e32 v44, v44, v49
	v_add_f16_e32 v45, v45, v48
	v_fma_f16 v48, v28, s21, v47
	v_fma_f16 v47, v28, s20, v47
	v_mul_f16_e32 v49, 0xbbad, v24
	v_mul_f16_e32 v24, 0x36a6, v24
	v_add_f16_e32 v47, v47, v51
	v_fma_f16 v51, v28, s16, v24
	v_fma_f16 v24, v28, s19, v24
	v_add_f16_e32 v2, v24, v2
	v_add_f16_e32 v24, v40, v42
	;; [unrolled: 1-line block ×3, first 2 shown]
	v_fma_f16 v50, v28, s23, v49
	v_fma_f16 v49, v28, s22, v49
	v_sub_f16_e32 v28, v39, v41
	v_mul_f16_e32 v39, 0xbbad, v24
	v_fma_f16 v40, v28, s23, v39
	v_fma_f16 v39, v28, s22, v39
	v_add_f16_e32 v93, v39, v43
	v_mul_f16_e32 v39, 0x3abb, v24
	v_add_f16_e32 v71, v40, v44
	v_fma_f16 v40, v28, s20, v39
	v_fma_f16 v39, v28, s21, v39
	v_add_f16_e32 v95, v39, v45
	v_mul_f16_e32 v39, 0xb93d, v24
	v_add_f16_e32 v52, v52, v56
	v_add_f16_e32 v94, v40, v46
	v_fma_f16 v40, v28, s6, v39
	v_fma_f16 v39, v28, s18, v39
	v_add_f16_e32 v58, v58, v60
	v_add_f16_e32 v59, v59, v61
	;; [unrolled: 1-line block ×5, first 2 shown]
	v_mul_f16_e32 v39, 0x36a6, v24
	v_add_f16_e32 v54, v54, v58
	v_add_f16_e32 v55, v55, v59
	v_add_f16_e32 v49, v49, v53
	v_add_f16_e32 v96, v40, v48
	v_fma_f16 v40, v28, s16, v39
	v_fma_f16 v39, v28, s19, v39
	v_mul_f16_e32 v24, 0xb08e, v24
	v_add_f16_e32 v50, v50, v54
	v_add_f16_e32 v51, v51, v55
	;; [unrolled: 1-line block ×3, first 2 shown]
	v_fma_f16 v39, v28, s17, v24
	v_fma_f16 v24, v28, s15, v24
	v_add_f16_e32 v98, v40, v50
	v_add_f16_e32 v100, v39, v51
	;; [unrolled: 1-line block ×3, first 2 shown]
	s_waitcnt lgkmcnt(0)
	; wave barrier
	s_waitcnt lgkmcnt(0)
	ds_read_u16 v63, v13 offset:1650
	ds_read_u16 v58, v13 offset:2420
	;; [unrolled: 1-line block ×6, first 2 shown]
	ds_read_u16 v42, v13
	ds_read_u16 v41, v13 offset:110
	ds_read_u16 v40, v13 offset:220
	;; [unrolled: 1-line block ×28, first 2 shown]
	s_waitcnt lgkmcnt(0)
	; wave barrier
	s_waitcnt lgkmcnt(0)
	ds_write_b16 v101, v8
	ds_write_b16 v101, v76 offset:14
	ds_write_b16 v101, v79 offset:28
	ds_write_b16 v101, v81 offset:42
	ds_write_b16 v101, v83 offset:56
	ds_write_b16 v101, v84 offset:70
	ds_write_b16 v101, v73 offset:84
	ds_write_b16 v101, v82 offset:98
	ds_write_b16 v101, v80 offset:112
	ds_write_b16 v101, v78 offset:126
	ds_write_b16 v101, v75 offset:140
	ds_write_b16 v10, v87
	ds_write_b16 v10, v72 offset:14
	ds_write_b16 v10, v77 offset:28
	ds_write_b16 v10, v86 offset:42
	ds_write_b16 v10, v89 offset:56
	ds_write_b16 v10, v91 offset:70
	ds_write_b16 v10, v9 offset:84
	ds_write_b16 v10, v90 offset:98
	ds_write_b16 v10, v88 offset:112
	ds_write_b16 v10, v85 offset:126
	ds_write_b16 v10, v74 offset:140
	;; [unrolled: 11-line block ×3, first 2 shown]
	s_and_saveexec_b64 s[4:5], s[0:1]
	s_cbranch_execz .LBB0_21
; %bb.20:
	v_add_f16_e32 v8, v0, v36
	v_add_f16_e32 v8, v8, v32
	;; [unrolled: 1-line block ×11, first 2 shown]
	v_sub_f16_e32 v10, v35, v37
	v_mul_f16_e32 v11, 0x3abb, v9
	s_movk_i32 s0, 0x3853
	s_mov_b32 s1, 0xb853
	v_mul_f16_e32 v36, 0x36a6, v9
	s_movk_i32 s7, 0x3b47
	s_mov_b32 s8, 0xbb47
	;; [unrolled: 3-line block ×3, first 2 shown]
	v_mul_f16_e32 v72, 0xb93d, v9
	s_mov_b32 s15, 0xba0c
	v_mul_f16_e32 v9, 0xbbad, v9
	s_movk_i32 s16, 0x3482
	s_mov_b32 s17, 0xb482
	v_fma_f16 v35, v10, s0, v11
	v_fma_f16 v11, v10, s1, v11
	;; [unrolled: 1-line block ×10, first 2 shown]
	v_add_f16_e32 v35, v0, v35
	v_add_f16_e32 v11, v0, v11
	v_add_f16_e32 v37, v0, v37
	v_add_f16_e32 v36, v0, v36
	v_add_f16_e32 v71, v0, v71
	v_add_f16_e32 v38, v0, v38
	v_add_f16_e32 v73, v0, v73
	v_add_f16_e32 v72, v0, v72
	v_add_f16_e32 v74, v0, v74
	v_add_f16_e32 v0, v0, v9
	v_add_f16_e32 v9, v32, v34
	v_sub_f16_e32 v10, v30, v33
	v_mul_f16_e32 v30, 0x36a6, v9
	v_fma_f16 v32, v10, s7, v30
	v_fma_f16 v30, v10, s8, v30
	v_add_f16_e32 v11, v30, v11
	v_mul_f16_e32 v30, 0xb93d, v9
	v_fma_f16 v33, v10, s6, v30
	v_fma_f16 v30, v10, s15, v30
	v_mul_f16_e32 v34, 0xbbad, v9
	v_add_f16_e32 v32, v32, v35
	v_add_f16_e32 v30, v30, v36
	v_fma_f16 v35, v10, s17, v34
	v_fma_f16 v34, v10, s16, v34
	v_mul_f16_e32 v36, 0xb08e, v9
	v_mul_f16_e32 v9, 0x3abb, v9
	v_add_f16_e32 v34, v34, v38
	v_fma_f16 v38, v10, s1, v9
	v_fma_f16 v9, v10, s0, v9
	v_add_f16_e32 v0, v9, v0
	v_add_f16_e32 v9, v27, v31
	v_add_f16_e32 v33, v33, v37
	v_fma_f16 v37, v10, s14, v36
	v_fma_f16 v36, v10, s9, v36
	v_sub_f16_e32 v10, v26, v29
	v_mul_f16_e32 v26, 0xb08e, v9
	v_fma_f16 v27, v10, s9, v26
	v_fma_f16 v26, v10, s14, v26
	v_add_f16_e32 v11, v26, v11
	v_mul_f16_e32 v26, 0xbbad, v9
	v_fma_f16 v29, v10, s17, v26
	v_fma_f16 v26, v10, s16, v26
	v_add_f16_e32 v26, v26, v30
	v_mul_f16_e32 v30, 0x36a6, v9
	v_add_f16_e32 v27, v27, v32
	v_fma_f16 v31, v10, s8, v30
	v_fma_f16 v30, v10, s7, v30
	v_mul_f16_e32 v32, 0x3abb, v9
	v_mul_f16_e32 v9, 0xb93d, v9
	v_add_f16_e32 v30, v30, v34
	v_fma_f16 v34, v10, s6, v9
	v_fma_f16 v9, v10, s15, v9
	v_add_f16_e32 v0, v9, v0
	v_add_f16_e32 v9, v22, v25
	;; [unrolled: 1-line block ×3, first 2 shown]
	v_fma_f16 v33, v10, s0, v32
	v_fma_f16 v32, v10, s1, v32
	v_sub_f16_e32 v10, v21, v23
	v_mul_f16_e32 v21, 0xb93d, v9
	v_fma_f16 v22, v10, s6, v21
	v_fma_f16 v21, v10, s15, v21
	v_add_f16_e32 v11, v21, v11
	v_mul_f16_e32 v21, 0xb08e, v9
	v_fma_f16 v23, v10, s14, v21
	v_fma_f16 v21, v10, s9, v21
	v_mul_f16_e32 v25, 0x3abb, v9
	v_add_f16_e32 v22, v22, v27
	v_add_f16_e32 v21, v21, v26
	v_fma_f16 v26, v10, s0, v25
	v_fma_f16 v25, v10, s1, v25
	v_mul_f16_e32 v27, 0xbbad, v9
	v_mul_f16_e32 v9, 0x36a6, v9
	v_add_f16_e32 v25, v25, v30
	v_fma_f16 v30, v10, s8, v9
	v_fma_f16 v9, v10, s7, v9
	v_add_f16_e32 v0, v9, v0
	v_add_f16_e32 v9, v18, v20
	;; [unrolled: 1-line block ×3, first 2 shown]
	v_fma_f16 v29, v10, s16, v27
	v_fma_f16 v27, v10, s17, v27
	v_sub_f16_e32 v10, v17, v19
	v_mul_f16_e32 v17, 0xbbad, v9
	v_fma_f16 v18, v10, s16, v17
	v_fma_f16 v17, v10, s17, v17
	v_add_f16_e32 v11, v17, v11
	v_mul_f16_e32 v17, 0x3abb, v9
	v_fma_f16 v19, v10, s1, v17
	v_fma_f16 v17, v10, s0, v17
	v_mul_f16_e32 v20, 0xb93d, v9
	v_add_f16_e32 v18, v18, v22
	v_add_f16_e32 v17, v17, v21
	v_fma_f16 v21, v10, s6, v20
	v_fma_f16 v20, v10, s15, v20
	v_mul_f16_e32 v22, 0x36a6, v9
	v_mul_f16_e32 v9, 0xb08e, v9
	v_add_f16_e32 v20, v20, v25
	v_fma_f16 v25, v10, s9, v9
	v_fma_f16 v9, v10, s14, v9
	v_add_f16_e32 v35, v35, v71
	v_add_f16_e32 v37, v37, v73
	;; [unrolled: 1-line block ×5, first 2 shown]
	v_mov_b32_e32 v9, 1
	v_add_f16_e32 v31, v31, v35
	v_add_f16_e32 v33, v33, v37
	;; [unrolled: 1-line block ×4, first 2 shown]
	v_mul_u32_u24_e32 v1, 0x9a, v1
	v_lshlrev_b32_sdwa v3, v9, v3 dst_sel:DWORD dst_unused:UNUSED_PAD src0_sel:DWORD src1_sel:BYTE_0
	v_add_f16_e32 v26, v26, v31
	v_add_f16_e32 v29, v29, v33
	v_add_f16_e32 v27, v27, v32
	v_add_f16_e32 v30, v30, v34
	v_add_f16_e32 v19, v19, v23
	v_fma_f16 v23, v10, s8, v22
	v_fma_f16 v22, v10, s7, v22
	v_add3_u32 v1, 0, v1, v3
	v_add_f16_e32 v21, v21, v26
	v_add_f16_e32 v23, v23, v29
	;; [unrolled: 1-line block ×4, first 2 shown]
	ds_write_b16 v1, v8
	ds_write_b16 v1, v18 offset:14
	ds_write_b16 v1, v19 offset:28
	ds_write_b16 v1, v21 offset:42
	ds_write_b16 v1, v23 offset:56
	ds_write_b16 v1, v25 offset:70
	ds_write_b16 v1, v0 offset:84
	ds_write_b16 v1, v22 offset:98
	ds_write_b16 v1, v20 offset:112
	ds_write_b16 v1, v17 offset:126
	ds_write_b16 v1, v11 offset:140
.LBB0_21:
	s_or_b64 exec, exec, s[4:5]
	v_lshlrev_b32_e32 v8, 2, v12
	v_mov_b32_e32 v9, 0
	v_lshlrev_b64 v[0:1], 2, v[8:9]
	v_mov_b32_e32 v3, s13
	v_add_co_u32_e64 v10, s[0:1], s12, v0
	v_addc_co_u32_e64 v11, s[0:1], v3, v1, s[0:1]
	s_waitcnt lgkmcnt(0)
	; wave barrier
	s_waitcnt lgkmcnt(0)
	global_load_dwordx4 v[30:33], v[10:11], off offset:280
	v_subrev_u32_e32 v1, 22, v12
	v_cmp_gt_u32_e64 s[0:1], 22, v12
	v_cndmask_b32_e64 v1, v1, v14, s[0:1]
	v_lshlrev_b32_e32 v8, 2, v1
	v_lshlrev_b64 v[19:20], 2, v[8:9]
	v_add_u32_e32 v17, 0xdc, v12
	v_add_co_u32_e64 v19, s[0:1], s12, v19
	v_addc_co_u32_e64 v20, s[0:1], v3, v20, s[0:1]
	global_load_dwordx4 v[34:37], v[19:20], off offset:280
	s_movk_i32 s0, 0xd5
	v_mul_lo_u16_sdwa v3, v15, s0 dst_sel:DWORD dst_unused:UNUSED_PAD src0_sel:BYTE_0 src1_sel:DWORD
	v_lshrrev_b16_e32 v3, 14, v3
	v_mul_lo_u16_e32 v8, 0x4d, v3
	v_mov_b32_e32 v19, 4
	v_sub_u16_e32 v8, v15, v8
	v_lshlrev_b32_sdwa v19, v19, v8 dst_sel:DWORD dst_unused:UNUSED_PAD src0_sel:DWORD src1_sel:BYTE_0
	ds_read_u16 v38, v13 offset:1650
	ds_read_u16 v87, v13 offset:2420
	;; [unrolled: 1-line block ×6, first 2 shown]
	ds_read_u16 v92, v13
	ds_read_u16 v93, v13 offset:110
	ds_read_u16 v94, v13 offset:220
	;; [unrolled: 1-line block ×5, first 2 shown]
	global_load_dwordx4 v[71:74], v19, s[12:13] offset:280
	v_mul_lo_u16_sdwa v19, v16, s0 dst_sel:DWORD dst_unused:UNUSED_PAD src0_sel:BYTE_0 src1_sel:DWORD
	v_lshrrev_b16_e32 v19, 14, v19
	v_mul_lo_u16_e32 v19, 0x4d, v19
	v_sub_u16_e32 v19, v16, v19
	v_and_b32_e32 v19, 0xff, v19
	v_lshlrev_b32_e32 v20, 4, v19
	s_movk_i32 s0, 0x1a99
	ds_read_u16 v96, v13 offset:880
	ds_read_u16 v97, v13 offset:990
	;; [unrolled: 1-line block ×9, first 2 shown]
	global_load_dwordx4 v[75:78], v20, s[12:13] offset:280
	v_mul_u32_u24_sdwa v20, v17, s0 dst_sel:DWORD dst_unused:UNUSED_PAD src0_sel:WORD_0 src1_sel:DWORD
	v_lshrrev_b32_e32 v20, 19, v20
	v_mul_lo_u16_e32 v21, 0x4d, v20
	v_sub_u16_e32 v21, v17, v21
	v_add_u32_e32 v18, 0x113, v12
	ds_read_u16 v105, v13 offset:2640
	ds_read_u16 v106, v13 offset:2750
	;; [unrolled: 1-line block ×11, first 2 shown]
	v_lshlrev_b32_e32 v26, 4, v21
	global_load_dwordx4 v[79:82], v26, s[12:13] offset:280
	ds_read_u16 v113, v13 offset:3520
	ds_read_u16 v114, v13 offset:3630
	;; [unrolled: 1-line block ×3, first 2 shown]
	v_add_u32_e32 v0, 0x14a, v12
	s_mov_b32 s4, 0xbb9c
	s_movk_i32 s7, 0x3b9c
	s_mov_b32 s5, 0xb8b4
	s_movk_i32 s8, 0x38b4
	s_movk_i32 s6, 0x34f2
	v_lshlrev_b32_e32 v1, 1, v1
	v_mul_u32_u24_e32 v3, 0x302, v3
	s_waitcnt vmcnt(4)
	v_mul_f16_sdwa v83, v69, v30 dst_sel:DWORD dst_unused:UNUSED_PAD src0_sel:DWORD src1_sel:WORD_1
	s_waitcnt lgkmcnt(10)
	v_mul_f16_sdwa v26, v25, v30 dst_sel:DWORD dst_unused:UNUSED_PAD src0_sel:DWORD src1_sel:WORD_1
	v_fma_f16 v116, v25, v30, -v83
	v_mul_u32_u24_sdwa v25, v18, s0 dst_sel:DWORD dst_unused:UNUSED_PAD src0_sel:WORD_0 src1_sel:DWORD
	v_lshrrev_b32_e32 v25, 19, v25
	v_fma_f16 v69, v69, v30, v26
	v_mul_lo_u16_e32 v26, 0x4d, v25
	s_waitcnt lgkmcnt(8)
	v_mul_f16_sdwa v84, v27, v31 dst_sel:DWORD dst_unused:UNUSED_PAD src0_sel:DWORD src1_sel:WORD_1
	v_sub_u16_e32 v26, v18, v26
	v_fma_f16 v117, v70, v31, v84
	v_mul_f16_sdwa v30, v70, v31 dst_sel:DWORD dst_unused:UNUSED_PAD src0_sel:DWORD src1_sel:WORD_1
	v_lshlrev_b32_e32 v70, 4, v26
	global_load_dwordx4 v[83:86], v70, s[12:13] offset:280
	v_fma_f16 v70, v27, v31, -v30
	s_waitcnt lgkmcnt(6)
	v_mul_f16_sdwa v27, v109, v32 dst_sel:DWORD dst_unused:UNUSED_PAD src0_sel:DWORD src1_sel:WORD_1
	v_fma_f16 v118, v68, v32, v27
	v_mul_f16_sdwa v27, v68, v32 dst_sel:DWORD dst_unused:UNUSED_PAD src0_sel:DWORD src1_sel:WORD_1
	v_fma_f16 v68, v109, v32, -v27
	s_waitcnt lgkmcnt(4)
	v_mul_f16_sdwa v27, v111, v33 dst_sel:DWORD dst_unused:UNUSED_PAD src0_sel:DWORD src1_sel:WORD_1
	v_fma_f16 v109, v67, v33, v27
	v_mul_f16_sdwa v27, v67, v33 dst_sel:DWORD dst_unused:UNUSED_PAD src0_sel:DWORD src1_sel:WORD_1
	v_fma_f16 v67, v111, v33, -v27
	v_mul_u32_u24_sdwa v27, v0, s0 dst_sel:DWORD dst_unused:UNUSED_PAD src0_sel:WORD_0 src1_sel:DWORD
	v_lshrrev_b32_e32 v27, 19, v27
	v_mul_lo_u16_e32 v27, 0x4d, v27
	v_sub_u16_e32 v27, v0, v27
	v_lshlrev_b32_e32 v30, 4, v27
	global_load_dwordx4 v[30:33], v30, s[12:13] offset:280
	s_waitcnt vmcnt(5)
	v_mul_f16_sdwa v111, v96, v34 dst_sel:DWORD dst_unused:UNUSED_PAD src0_sel:DWORD src1_sel:WORD_1
	v_fma_f16 v111, v66, v34, v111
	v_mul_f16_sdwa v66, v66, v34 dst_sel:DWORD dst_unused:UNUSED_PAD src0_sel:DWORD src1_sel:WORD_1
	v_fma_f16 v34, v96, v34, -v66
	v_mul_f16_sdwa v66, v38, v35 dst_sel:DWORD dst_unused:UNUSED_PAD src0_sel:DWORD src1_sel:WORD_1
	v_fma_f16 v66, v63, v35, v66
	v_mul_f16_sdwa v63, v63, v35 dst_sel:DWORD dst_unused:UNUSED_PAD src0_sel:DWORD src1_sel:WORD_1
	v_fma_f16 v35, v38, v35, -v63
	;; [unrolled: 4-line block ×4, first 2 shown]
	s_waitcnt vmcnt(4)
	v_mul_f16_sdwa v62, v97, v71 dst_sel:DWORD dst_unused:UNUSED_PAD src0_sel:DWORD src1_sel:WORD_1
	v_mul_f16_sdwa v63, v64, v71 dst_sel:DWORD dst_unused:UNUSED_PAD src0_sel:DWORD src1_sel:WORD_1
	v_fma_f16 v62, v64, v71, v62
	v_fma_f16 v63, v97, v71, -v63
	v_mul_f16_sdwa v71, v88, v73 dst_sel:DWORD dst_unused:UNUSED_PAD src0_sel:DWORD src1_sel:WORD_1
	v_mul_f16_sdwa v64, v101, v72 dst_sel:DWORD dst_unused:UNUSED_PAD src0_sel:DWORD src1_sel:WORD_1
	v_fma_f16 v71, v56, v73, v71
	v_mul_f16_sdwa v56, v56, v73 dst_sel:DWORD dst_unused:UNUSED_PAD src0_sel:DWORD src1_sel:WORD_1
	v_fma_f16 v64, v65, v72, v64
	v_mul_f16_sdwa v65, v65, v72 dst_sel:DWORD dst_unused:UNUSED_PAD src0_sel:DWORD src1_sel:WORD_1
	v_fma_f16 v56, v88, v73, -v56
	s_waitcnt vmcnt(3)
	v_mul_f16_sdwa v73, v98, v75 dst_sel:DWORD dst_unused:UNUSED_PAD src0_sel:DWORD src1_sel:WORD_1
	v_fma_f16 v65, v101, v72, -v65
	v_mul_f16_sdwa v72, v90, v74 dst_sel:DWORD dst_unused:UNUSED_PAD src0_sel:DWORD src1_sel:WORD_1
	v_fma_f16 v73, v60, v75, v73
	v_mul_f16_sdwa v60, v60, v75 dst_sel:DWORD dst_unused:UNUSED_PAD src0_sel:DWORD src1_sel:WORD_1
	v_fma_f16 v72, v55, v74, v72
	v_mul_f16_sdwa v55, v55, v74 dst_sel:DWORD dst_unused:UNUSED_PAD src0_sel:DWORD src1_sel:WORD_1
	v_fma_f16 v60, v98, v75, -v60
	v_mul_f16_sdwa v75, v105, v77 dst_sel:DWORD dst_unused:UNUSED_PAD src0_sel:DWORD src1_sel:WORD_1
	v_fma_f16 v55, v90, v74, -v55
	v_mul_f16_sdwa v74, v102, v76 dst_sel:DWORD dst_unused:UNUSED_PAD src0_sel:DWORD src1_sel:WORD_1
	v_fma_f16 v75, v59, v77, v75
	v_mul_f16_sdwa v59, v59, v77 dst_sel:DWORD dst_unused:UNUSED_PAD src0_sel:DWORD src1_sel:WORD_1
	v_fma_f16 v74, v61, v76, v74
	v_mul_f16_sdwa v61, v61, v76 dst_sel:DWORD dst_unused:UNUSED_PAD src0_sel:DWORD src1_sel:WORD_1
	v_fma_f16 v59, v105, v77, -v59
	s_waitcnt vmcnt(2)
	v_mul_f16_sdwa v77, v99, v79 dst_sel:DWORD dst_unused:UNUSED_PAD src0_sel:DWORD src1_sel:WORD_1
	v_fma_f16 v61, v102, v76, -v61
	v_mul_f16_sdwa v76, v91, v78 dst_sel:DWORD dst_unused:UNUSED_PAD src0_sel:DWORD src1_sel:WORD_1
	v_fma_f16 v77, v53, v79, v77
	v_mul_f16_sdwa v53, v53, v79 dst_sel:DWORD dst_unused:UNUSED_PAD src0_sel:DWORD src1_sel:WORD_1
	v_fma_f16 v76, v50, v78, v76
	v_mul_f16_sdwa v50, v50, v78 dst_sel:DWORD dst_unused:UNUSED_PAD src0_sel:DWORD src1_sel:WORD_1
	v_fma_f16 v53, v99, v79, -v53
	v_mul_f16_sdwa v79, v106, v81 dst_sel:DWORD dst_unused:UNUSED_PAD src0_sel:DWORD src1_sel:WORD_1
	v_fma_f16 v50, v91, v78, -v50
	v_mul_f16_sdwa v78, v103, v80 dst_sel:DWORD dst_unused:UNUSED_PAD src0_sel:DWORD src1_sel:WORD_1
	v_fma_f16 v79, v52, v81, v79
	v_mul_f16_sdwa v52, v52, v81 dst_sel:DWORD dst_unused:UNUSED_PAD src0_sel:DWORD src1_sel:WORD_1
	v_fma_f16 v78, v54, v80, v78
	v_mul_f16_sdwa v54, v54, v80 dst_sel:DWORD dst_unused:UNUSED_PAD src0_sel:DWORD src1_sel:WORD_1
	v_fma_f16 v52, v106, v81, -v52
	v_fma_f16 v54, v103, v80, -v54
	s_waitcnt lgkmcnt(2)
	v_mul_f16_sdwa v80, v113, v82 dst_sel:DWORD dst_unused:UNUSED_PAD src0_sel:DWORD src1_sel:WORD_1
	v_fma_f16 v80, v57, v82, v80
	v_mul_f16_sdwa v57, v57, v82 dst_sel:DWORD dst_unused:UNUSED_PAD src0_sel:DWORD src1_sel:WORD_1
	v_fma_f16 v57, v113, v82, -v57
	s_waitcnt vmcnt(1)
	v_mul_f16_sdwa v81, v100, v83 dst_sel:DWORD dst_unused:UNUSED_PAD src0_sel:DWORD src1_sel:WORD_1
	v_fma_f16 v81, v48, v83, v81
	v_mul_f16_sdwa v48, v48, v83 dst_sel:DWORD dst_unused:UNUSED_PAD src0_sel:DWORD src1_sel:WORD_1
	v_fma_f16 v48, v100, v83, -v48
	v_mul_f16_sdwa v83, v107, v85 dst_sel:DWORD dst_unused:UNUSED_PAD src0_sel:DWORD src1_sel:WORD_1
	v_mul_f16_sdwa v82, v104, v84 dst_sel:DWORD dst_unused:UNUSED_PAD src0_sel:DWORD src1_sel:WORD_1
	v_fma_f16 v83, v47, v85, v83
	v_mul_f16_sdwa v47, v47, v85 dst_sel:DWORD dst_unused:UNUSED_PAD src0_sel:DWORD src1_sel:WORD_1
	v_fma_f16 v82, v49, v84, v82
	v_mul_f16_sdwa v49, v49, v84 dst_sel:DWORD dst_unused:UNUSED_PAD src0_sel:DWORD src1_sel:WORD_1
	v_fma_f16 v47, v107, v85, -v47
	v_fma_f16 v49, v104, v84, -v49
	s_waitcnt lgkmcnt(1)
	v_mul_f16_sdwa v84, v114, v86 dst_sel:DWORD dst_unused:UNUSED_PAD src0_sel:DWORD src1_sel:WORD_1
	v_fma_f16 v84, v51, v86, v84
	v_mul_f16_sdwa v51, v51, v86 dst_sel:DWORD dst_unused:UNUSED_PAD src0_sel:DWORD src1_sel:WORD_1
	s_waitcnt vmcnt(0)
	v_mul_f16_sdwa v85, v108, v30 dst_sel:DWORD dst_unused:UNUSED_PAD src0_sel:DWORD src1_sel:WORD_1
	v_fma_f16 v85, v46, v30, v85
	v_mul_f16_sdwa v46, v46, v30 dst_sel:DWORD dst_unused:UNUSED_PAD src0_sel:DWORD src1_sel:WORD_1
	v_fma_f16 v30, v108, v30, -v46
	v_mul_f16_sdwa v46, v110, v31 dst_sel:DWORD dst_unused:UNUSED_PAD src0_sel:DWORD src1_sel:WORD_1
	v_fma_f16 v51, v114, v86, -v51
	v_fma_f16 v46, v45, v31, v46
	v_mul_f16_sdwa v45, v45, v31 dst_sel:DWORD dst_unused:UNUSED_PAD src0_sel:DWORD src1_sel:WORD_1
	v_add_f16_e32 v86, v117, v118
	v_fma_f16 v31, v110, v31, -v45
	v_mul_f16_sdwa v45, v112, v32 dst_sel:DWORD dst_unused:UNUSED_PAD src0_sel:DWORD src1_sel:WORD_1
	v_fma_f16 v86, v86, -0.5, v42
	v_sub_f16_e32 v87, v116, v67
	v_fma_f16 v45, v44, v32, v45
	v_mul_f16_sdwa v44, v44, v32 dst_sel:DWORD dst_unused:UNUSED_PAD src0_sel:DWORD src1_sel:WORD_1
	v_fma_f16 v88, v87, s4, v86
	v_sub_f16_e32 v89, v70, v68
	v_sub_f16_e32 v90, v69, v117
	;; [unrolled: 1-line block ×3, first 2 shown]
	v_fma_f16 v86, v87, s7, v86
	v_fma_f16 v32, v112, v32, -v44
	s_waitcnt lgkmcnt(0)
	v_mul_f16_sdwa v44, v115, v33 dst_sel:DWORD dst_unused:UNUSED_PAD src0_sel:DWORD src1_sel:WORD_1
	v_fma_f16 v88, v89, s5, v88
	v_add_f16_e32 v90, v90, v91
	v_fma_f16 v86, v89, s8, v86
	v_fma_f16 v44, v43, v33, v44
	v_mul_f16_sdwa v43, v43, v33 dst_sel:DWORD dst_unused:UNUSED_PAD src0_sel:DWORD src1_sel:WORD_1
	v_fma_f16 v88, v90, s6, v88
	v_fma_f16 v86, v90, s6, v86
	v_add_f16_e32 v90, v69, v109
	v_fma_f16 v33, v115, v33, -v43
	v_add_f16_e32 v43, v42, v69
	v_fma_f16 v42, v90, -0.5, v42
	v_fma_f16 v90, v89, s7, v42
	v_sub_f16_e32 v91, v117, v69
	v_sub_f16_e32 v96, v118, v109
	v_fma_f16 v42, v89, s4, v42
	v_add_f16_e32 v89, v70, v68
	v_fma_f16 v90, v87, s5, v90
	v_add_f16_e32 v91, v91, v96
	v_fma_f16 v42, v87, s8, v42
	v_fma_f16 v89, v89, -0.5, v92
	v_sub_f16_e32 v69, v69, v109
	v_fma_f16 v90, v91, s6, v90
	v_fma_f16 v42, v91, s6, v42
	v_add_f16_e32 v87, v92, v116
	v_fma_f16 v91, v69, s7, v89
	v_sub_f16_e32 v96, v117, v118
	v_sub_f16_e32 v97, v116, v70
	;; [unrolled: 1-line block ×3, first 2 shown]
	v_fma_f16 v89, v69, s4, v89
	v_add_f16_e32 v87, v87, v70
	v_fma_f16 v91, v96, s8, v91
	v_add_f16_e32 v97, v97, v98
	v_fma_f16 v89, v96, s5, v89
	v_add_f16_e32 v87, v87, v68
	v_fma_f16 v91, v97, s6, v91
	v_fma_f16 v89, v97, s6, v89
	v_add_f16_e32 v97, v116, v67
	v_add_f16_e32 v87, v87, v67
	v_fma_f16 v92, v97, -0.5, v92
	v_sub_f16_e32 v70, v70, v116
	v_sub_f16_e32 v67, v68, v67
	v_fma_f16 v97, v96, s4, v92
	v_add_f16_e32 v67, v70, v67
	v_fma_f16 v70, v96, s7, v92
	v_fma_f16 v97, v69, s8, v97
	;; [unrolled: 1-line block ×3, first 2 shown]
	v_add_f16_e32 v70, v66, v38
	v_fma_f16 v70, v70, -0.5, v41
	v_sub_f16_e32 v92, v34, v37
	v_fma_f16 v68, v67, s6, v97
	v_fma_f16 v96, v92, s4, v70
	v_sub_f16_e32 v97, v35, v36
	v_sub_f16_e32 v98, v111, v66
	;; [unrolled: 1-line block ×3, first 2 shown]
	v_fma_f16 v70, v92, s7, v70
	v_fma_f16 v96, v97, s5, v96
	v_add_f16_e32 v98, v98, v99
	v_fma_f16 v70, v97, s8, v70
	v_fma_f16 v67, v67, s6, v69
	v_add_f16_e32 v69, v41, v111
	;; [unrolled: 3-line block ×3, first 2 shown]
	v_add_f16_e32 v69, v69, v66
	v_fma_f16 v41, v98, -0.5, v41
	v_add_f16_e32 v69, v69, v38
	v_fma_f16 v98, v97, s7, v41
	v_sub_f16_e32 v99, v66, v111
	v_sub_f16_e32 v100, v38, v58
	v_fma_f16 v41, v97, s4, v41
	v_add_f16_e32 v97, v35, v36
	v_add_f16_e32 v69, v69, v58
	v_fma_f16 v98, v92, s5, v98
	v_add_f16_e32 v99, v99, v100
	v_fma_f16 v41, v92, s8, v41
	v_fma_f16 v97, v97, -0.5, v93
	v_sub_f16_e32 v58, v111, v58
	v_fma_f16 v98, v99, s6, v98
	v_fma_f16 v41, v99, s6, v41
	;; [unrolled: 1-line block ×3, first 2 shown]
	v_sub_f16_e32 v38, v66, v38
	v_fma_f16 v66, v38, s8, v99
	v_sub_f16_e32 v99, v34, v35
	v_sub_f16_e32 v100, v37, v36
	v_fma_f16 v97, v58, s4, v97
	v_add_f16_e32 v99, v99, v100
	v_fma_f16 v97, v38, s5, v97
	v_add_f16_e32 v92, v93, v34
	v_fma_f16 v66, v99, s6, v66
	v_fma_f16 v97, v99, s6, v97
	v_add_f16_e32 v99, v34, v37
	v_add_f16_e32 v92, v92, v35
	v_fma_f16 v93, v99, -0.5, v93
	v_sub_f16_e32 v34, v35, v34
	v_sub_f16_e32 v35, v36, v37
	v_add_f16_e32 v34, v34, v35
	v_fma_f16 v35, v38, s7, v93
	v_fma_f16 v99, v38, s4, v93
	;; [unrolled: 1-line block ×5, first 2 shown]
	v_add_f16_e32 v35, v64, v71
	v_add_f16_e32 v92, v92, v36
	v_fma_f16 v35, v35, -0.5, v40
	v_sub_f16_e32 v36, v63, v55
	v_add_f16_e32 v92, v92, v37
	v_fma_f16 v37, v36, s4, v35
	v_sub_f16_e32 v38, v65, v56
	v_sub_f16_e32 v93, v62, v64
	;; [unrolled: 1-line block ×3, first 2 shown]
	v_fma_f16 v35, v36, s7, v35
	v_fma_f16 v37, v38, s5, v37
	v_add_f16_e32 v93, v93, v100
	v_fma_f16 v35, v38, s8, v35
	v_fma_f16 v37, v93, s6, v37
	;; [unrolled: 1-line block ×3, first 2 shown]
	v_add_f16_e32 v93, v62, v72
	v_fma_f16 v99, v34, s6, v99
	v_add_f16_e32 v34, v40, v62
	v_fma_f16 v40, v93, -0.5, v40
	v_fma_f16 v93, v38, s7, v40
	v_fma_f16 v38, v38, s4, v40
	;; [unrolled: 1-line block ×4, first 2 shown]
	v_add_f16_e32 v38, v94, v63
	v_add_f16_e32 v38, v38, v65
	;; [unrolled: 1-line block ×7, first 2 shown]
	v_sub_f16_e32 v100, v64, v62
	v_sub_f16_e32 v101, v71, v72
	v_fma_f16 v38, v38, -0.5, v94
	v_sub_f16_e32 v62, v62, v72
	v_add_f16_e32 v34, v34, v72
	v_add_f16_e32 v100, v100, v101
	v_fma_f16 v72, v62, s7, v38
	v_sub_f16_e32 v64, v64, v71
	v_fma_f16 v93, v100, s6, v93
	v_fma_f16 v36, v100, s6, v36
	v_fma_f16 v71, v64, s8, v72
	v_sub_f16_e32 v72, v63, v65
	v_sub_f16_e32 v100, v55, v56
	v_fma_f16 v38, v62, s4, v38
	v_add_f16_e32 v72, v72, v100
	v_fma_f16 v38, v64, s5, v38
	v_fma_f16 v71, v72, s6, v71
	;; [unrolled: 1-line block ×3, first 2 shown]
	v_add_f16_e32 v38, v63, v55
	v_fma_f16 v38, v38, -0.5, v94
	v_fma_f16 v94, v64, s4, v38
	v_fma_f16 v38, v64, s7, v38
	;; [unrolled: 1-line block ×3, first 2 shown]
	v_sub_f16_e32 v63, v65, v63
	v_sub_f16_e32 v55, v56, v55
	v_fma_f16 v38, v62, s5, v38
	v_add_f16_e32 v62, v74, v75
	v_add_f16_e32 v55, v63, v55
	v_fma_f16 v62, v62, -0.5, v39
	v_sub_f16_e32 v63, v60, v50
	v_fma_f16 v56, v55, s6, v94
	v_fma_f16 v64, v63, s4, v62
	v_sub_f16_e32 v65, v61, v59
	v_sub_f16_e32 v94, v73, v74
	v_sub_f16_e32 v100, v76, v75
	v_fma_f16 v62, v63, s7, v62
	v_fma_f16 v64, v65, s5, v64
	v_add_f16_e32 v94, v94, v100
	v_fma_f16 v62, v65, s8, v62
	v_fma_f16 v64, v94, s6, v64
	;; [unrolled: 1-line block ×3, first 2 shown]
	v_add_f16_e32 v94, v73, v76
	v_fma_f16 v55, v55, s6, v38
	v_add_f16_e32 v38, v39, v73
	v_fma_f16 v39, v94, -0.5, v39
	v_add_f16_e32 v38, v38, v74
	v_fma_f16 v94, v65, s7, v39
	v_fma_f16 v39, v65, s4, v39
	v_add_f16_e32 v65, v61, v59
	v_add_f16_e32 v38, v38, v75
	v_sub_f16_e32 v100, v74, v73
	v_sub_f16_e32 v101, v75, v76
	v_fma_f16 v65, v65, -0.5, v95
	v_sub_f16_e32 v73, v73, v76
	v_add_f16_e32 v38, v38, v76
	v_fma_f16 v94, v63, s5, v94
	v_add_f16_e32 v100, v100, v101
	v_fma_f16 v39, v63, s8, v39
	v_fma_f16 v76, v73, s7, v65
	v_sub_f16_e32 v74, v74, v75
	v_fma_f16 v94, v100, s6, v94
	v_fma_f16 v39, v100, s6, v39
	v_add_f16_e32 v63, v95, v60
	v_fma_f16 v75, v74, s8, v76
	v_sub_f16_e32 v76, v60, v61
	v_sub_f16_e32 v100, v50, v59
	v_fma_f16 v65, v73, s4, v65
	v_add_f16_e32 v63, v63, v61
	v_add_f16_e32 v76, v76, v100
	v_fma_f16 v65, v74, s5, v65
	v_add_f16_e32 v63, v63, v59
	v_fma_f16 v75, v76, s6, v75
	v_fma_f16 v65, v76, s6, v65
	v_add_f16_e32 v76, v60, v50
	v_add_f16_e32 v63, v63, v50
	v_fma_f16 v76, v76, -0.5, v95
	v_sub_f16_e32 v60, v61, v60
	v_sub_f16_e32 v50, v59, v50
	v_fma_f16 v95, v74, s4, v76
	v_add_f16_e32 v50, v60, v50
	v_fma_f16 v60, v74, s7, v76
	v_add_f16_e32 v61, v78, v79
	v_fma_f16 v95, v73, s8, v95
	v_fma_f16 v60, v73, s5, v60
	v_fma_f16 v61, v61, -0.5, v28
	v_sub_f16_e32 v73, v53, v57
	v_fma_f16 v59, v50, s6, v95
	v_fma_f16 v74, v73, s4, v61
	v_sub_f16_e32 v76, v54, v52
	v_sub_f16_e32 v95, v77, v78
	;; [unrolled: 1-line block ×3, first 2 shown]
	v_fma_f16 v61, v73, s7, v61
	v_fma_f16 v74, v76, s5, v74
	v_add_f16_e32 v95, v95, v100
	v_fma_f16 v61, v76, s8, v61
	v_fma_f16 v74, v95, s6, v74
	;; [unrolled: 1-line block ×3, first 2 shown]
	v_add_f16_e32 v95, v77, v80
	v_fma_f16 v60, v50, s6, v60
	v_add_f16_e32 v50, v28, v77
	v_fma_f16 v28, v95, -0.5, v28
	v_add_f16_e32 v50, v50, v78
	v_fma_f16 v95, v76, s7, v28
	v_fma_f16 v28, v76, s4, v28
	v_add_f16_e32 v76, v54, v52
	v_add_f16_e32 v50, v50, v79
	v_sub_f16_e32 v100, v78, v77
	v_sub_f16_e32 v101, v79, v80
	v_fma_f16 v76, v76, -0.5, v29
	v_sub_f16_e32 v77, v77, v80
	v_add_f16_e32 v50, v50, v80
	v_fma_f16 v95, v73, s5, v95
	v_add_f16_e32 v100, v100, v101
	v_fma_f16 v28, v73, s8, v28
	v_fma_f16 v80, v77, s7, v76
	v_sub_f16_e32 v78, v78, v79
	v_fma_f16 v95, v100, s6, v95
	v_fma_f16 v28, v100, s6, v28
	;; [unrolled: 1-line block ×3, first 2 shown]
	v_sub_f16_e32 v80, v53, v54
	v_sub_f16_e32 v100, v57, v52
	v_fma_f16 v76, v77, s4, v76
	v_add_f16_e32 v80, v80, v100
	v_fma_f16 v76, v78, s5, v76
	v_add_f16_e32 v73, v29, v53
	v_fma_f16 v79, v80, s6, v79
	v_fma_f16 v76, v80, s6, v76
	v_add_f16_e32 v80, v53, v57
	v_add_f16_e32 v73, v73, v54
	v_fma_f16 v29, v80, -0.5, v29
	v_add_f16_e32 v73, v73, v52
	v_fma_f16 v80, v78, s4, v29
	v_sub_f16_e32 v53, v54, v53
	v_sub_f16_e32 v52, v52, v57
	v_fma_f16 v29, v78, s7, v29
	v_fma_f16 v80, v77, s8, v80
	v_add_f16_e32 v52, v53, v52
	v_fma_f16 v29, v77, s5, v29
	v_add_f16_e32 v73, v73, v57
	v_fma_f16 v57, v52, s6, v80
	v_fma_f16 v77, v52, s6, v29
	v_add_f16_e32 v52, v82, v83
	v_fma_f16 v52, v52, -0.5, v24
	v_sub_f16_e32 v53, v48, v51
	v_fma_f16 v54, v53, s4, v52
	v_sub_f16_e32 v78, v49, v47
	v_sub_f16_e32 v80, v81, v82
	v_sub_f16_e32 v100, v84, v83
	v_fma_f16 v52, v53, s7, v52
	v_fma_f16 v54, v78, s5, v54
	v_add_f16_e32 v80, v80, v100
	v_fma_f16 v52, v78, s8, v52
	v_fma_f16 v54, v80, s6, v54
	v_fma_f16 v52, v80, s6, v52
	v_add_f16_e32 v80, v81, v84
	v_add_f16_e32 v29, v24, v81
	v_fma_f16 v24, v80, -0.5, v24
	v_fma_f16 v80, v78, s7, v24
	v_fma_f16 v24, v78, s4, v24
	;; [unrolled: 1-line block ×4, first 2 shown]
	v_add_f16_e32 v53, v22, v48
	v_add_f16_e32 v53, v53, v49
	v_add_f16_e32 v53, v53, v47
	v_add_f16_e32 v29, v29, v82
	v_add_f16_e32 v78, v53, v51
	v_add_f16_e32 v53, v49, v47
	v_add_f16_e32 v29, v29, v83
	v_sub_f16_e32 v100, v82, v81
	v_sub_f16_e32 v101, v83, v84
	v_fma_f16 v53, v53, -0.5, v22
	v_sub_f16_e32 v81, v81, v84
	v_add_f16_e32 v29, v29, v84
	v_add_f16_e32 v100, v100, v101
	v_fma_f16 v84, v81, s7, v53
	v_sub_f16_e32 v82, v82, v83
	v_fma_f16 v80, v100, s6, v80
	v_fma_f16 v24, v100, s6, v24
	;; [unrolled: 1-line block ×3, first 2 shown]
	v_sub_f16_e32 v84, v48, v49
	v_sub_f16_e32 v100, v51, v47
	v_fma_f16 v53, v81, s4, v53
	v_add_f16_e32 v84, v84, v100
	v_fma_f16 v53, v82, s5, v53
	v_fma_f16 v83, v84, s6, v83
	;; [unrolled: 1-line block ×3, first 2 shown]
	v_add_f16_e32 v53, v48, v51
	v_fma_f16 v22, v53, -0.5, v22
	v_fma_f16 v53, v82, s4, v22
	v_sub_f16_e32 v48, v49, v48
	v_sub_f16_e32 v47, v47, v51
	v_fma_f16 v22, v82, s7, v22
	v_fma_f16 v53, v81, s8, v53
	v_add_f16_e32 v47, v48, v47
	v_fma_f16 v22, v81, s5, v22
	v_fma_f16 v100, v47, s6, v53
	;; [unrolled: 1-line block ×3, first 2 shown]
	v_add_f16_e32 v47, v46, v45
	v_fma_f16 v47, v47, -0.5, v2
	v_sub_f16_e32 v48, v30, v33
	v_fma_f16 v49, v48, s4, v47
	v_sub_f16_e32 v51, v31, v32
	v_sub_f16_e32 v53, v85, v46
	;; [unrolled: 1-line block ×3, first 2 shown]
	v_fma_f16 v47, v48, s7, v47
	v_fma_f16 v49, v51, s5, v49
	v_add_f16_e32 v53, v53, v82
	v_fma_f16 v47, v51, s8, v47
	v_fma_f16 v49, v53, s6, v49
	;; [unrolled: 1-line block ×3, first 2 shown]
	v_add_f16_e32 v53, v85, v44
	v_add_f16_e32 v22, v2, v85
	v_fma_f16 v2, v53, -0.5, v2
	v_fma_f16 v53, v51, s7, v2
	v_fma_f16 v2, v51, s4, v2
	;; [unrolled: 1-line block ×4, first 2 shown]
	v_add_f16_e32 v48, v23, v30
	v_sub_f16_e32 v82, v46, v85
	v_sub_f16_e32 v101, v45, v44
	v_add_f16_e32 v48, v48, v31
	v_add_f16_e32 v22, v22, v46
	;; [unrolled: 1-line block ×5, first 2 shown]
	v_fma_f16 v53, v82, s6, v53
	v_fma_f16 v2, v82, s6, v2
	v_add_f16_e32 v82, v48, v33
	v_add_f16_e32 v48, v31, v32
	;; [unrolled: 1-line block ×3, first 2 shown]
	v_fma_f16 v48, v48, -0.5, v23
	v_sub_f16_e32 v44, v85, v44
	v_fma_f16 v51, v44, s7, v48
	v_sub_f16_e32 v45, v46, v45
	v_fma_f16 v46, v45, s8, v51
	v_sub_f16_e32 v51, v30, v31
	v_sub_f16_e32 v85, v33, v32
	v_add_f16_e32 v51, v51, v85
	v_fma_f16 v85, v51, s6, v46
	v_fma_f16 v46, v44, s4, v48
	;; [unrolled: 1-line block ×4, first 2 shown]
	v_add_f16_e32 v46, v30, v33
	v_fma_f16 v23, v46, -0.5, v23
	v_fma_f16 v46, v45, s4, v23
	v_sub_f16_e32 v30, v31, v30
	v_sub_f16_e32 v31, v32, v33
	v_fma_f16 v23, v45, s7, v23
	v_add_f16_e32 v30, v30, v31
	v_fma_f16 v23, v44, s5, v23
	v_fma_f16 v103, v30, s6, v23
	v_mov_b32_e32 v23, 0x302
	v_cmp_lt_u32_e64 s[0:1], 21, v12
	v_cndmask_b32_e64 v23, 0, v23, s[0:1]
	v_add_f16_e32 v43, v43, v117
	v_add3_u32 v1, 0, v23, v1
	v_mov_b32_e32 v23, 1
	v_add_f16_e32 v43, v43, v118
	v_lshlrev_b32_sdwa v8, v23, v8 dst_sel:DWORD dst_unused:UNUSED_PAD src0_sel:DWORD src1_sel:BYTE_0
	v_add_f16_e32 v43, v43, v109
	v_add3_u32 v3, 0, v3, v8
	v_lshl_add_u32 v8, v19, 1, 0
	v_mul_u32_u24_e32 v19, 0x302, v20
	v_lshlrev_b32_e32 v20, 1, v21
	s_waitcnt lgkmcnt(0)
	; wave barrier
	ds_write_b16 v13, v43
	ds_write_b16 v13, v88 offset:154
	ds_write_b16 v13, v90 offset:308
	ds_write_b16 v13, v42 offset:462
	ds_write_b16 v13, v86 offset:616
	ds_write_b16 v1, v69
	ds_write_b16 v1, v96 offset:154
	ds_write_b16 v1, v98 offset:308
	ds_write_b16 v1, v41 offset:462
	ds_write_b16 v1, v70 offset:616
	;; [unrolled: 5-line block ×3, first 2 shown]
	ds_write_b16 v8, v38 offset:1540
	ds_write_b16 v8, v64 offset:1694
	;; [unrolled: 1-line block ×5, first 2 shown]
	v_add3_u32 v62, 0, v19, v20
	v_mul_u32_u24_e32 v19, 0x302, v25
	v_lshlrev_b32_e32 v20, 1, v26
	v_fma_f16 v46, v44, s8, v46
	ds_write_b16 v62, v50
	ds_write_b16 v62, v74 offset:154
	ds_write_b16 v62, v95 offset:308
	;; [unrolled: 1-line block ×4, first 2 shown]
	v_add3_u32 v61, 0, v19, v20
	v_lshl_add_u32 v64, v27, 1, 0
	v_fma_f16 v102, v30, s6, v46
	ds_write_b16 v61, v29
	ds_write_b16 v61, v54 offset:154
	ds_write_b16 v61, v80 offset:308
	;; [unrolled: 1-line block ×9, first 2 shown]
	s_waitcnt lgkmcnt(0)
	; wave barrier
	s_waitcnt lgkmcnt(0)
	ds_read_u16 v26, v13 offset:1650
	ds_read_u16 v25, v13 offset:2420
	;; [unrolled: 1-line block ×6, first 2 shown]
	ds_read_u16 v19, v13
	ds_read_u16 v23, v13 offset:110
	ds_read_u16 v29, v13 offset:220
	;; [unrolled: 1-line block ×28, first 2 shown]
	s_waitcnt lgkmcnt(0)
	; wave barrier
	s_waitcnt lgkmcnt(0)
	ds_write_b16 v13, v87
	ds_write_b16 v13, v91 offset:154
	ds_write_b16 v13, v68 offset:308
	ds_write_b16 v13, v67 offset:462
	ds_write_b16 v13, v89 offset:616
	ds_write_b16 v1, v92
	ds_write_b16 v1, v66 offset:154
	ds_write_b16 v1, v99 offset:308
	ds_write_b16 v1, v58 offset:462
	ds_write_b16 v1, v97 offset:616
	;; [unrolled: 5-line block ×3, first 2 shown]
	ds_write_b16 v8, v63 offset:1540
	ds_write_b16 v8, v75 offset:1694
	;; [unrolled: 1-line block ×5, first 2 shown]
	ds_write_b16 v62, v73
	ds_write_b16 v62, v79 offset:154
	ds_write_b16 v62, v57 offset:308
	;; [unrolled: 1-line block ×4, first 2 shown]
	ds_write_b16 v61, v78
	ds_write_b16 v61, v83 offset:154
	ds_write_b16 v61, v100 offset:308
	;; [unrolled: 1-line block ×9, first 2 shown]
	s_waitcnt lgkmcnt(0)
	; wave barrier
	s_waitcnt lgkmcnt(0)
	s_and_saveexec_b64 s[0:1], vcc
	s_cbranch_execz .LBB0_23
; %bb.22:
	v_lshlrev_b32_e32 v8, 2, v0
	v_lshlrev_b64 v[0:1], 2, v[8:9]
	v_mov_b32_e32 v40, s13
	v_add_co_u32_e32 v0, vcc, s12, v0
	v_addc_co_u32_e32 v1, vcc, v40, v1, vcc
	global_load_dwordx4 v[0:3], v[0:1], off offset:1512
	v_mul_lo_u32 v55, s3, v6
	v_mul_lo_u32 v56, s2, v7
	v_mad_u64_u32 v[6:7], s[0:1], s2, v6, 0
	v_lshlrev_b32_e32 v8, 2, v18
	v_lshlrev_b64 v[57:58], 2, v[8:9]
	ds_read_u16 v61, v13 offset:1650
	ds_read_u16 v62, v13 offset:1540
	;; [unrolled: 1-line block ×20, first 2 shown]
	v_add_co_u32_e32 v59, vcc, s12, v57
	v_add3_u32 v7, v7, v56, v55
	v_addc_co_u32_e32 v60, vcc, v40, v58, vcc
	global_load_dwordx4 v[64:67], v[10:11], off offset:1512
	global_load_dwordx4 v[55:58], v[59:60], off offset:1512
	s_mov_b32 s0, 0x551c979b
	v_lshlrev_b64 v[6:7], 2, v[6:7]
	v_lshlrev_b64 v[4:5], 2, v[4:5]
	s_movk_i32 s1, 0x1000
	s_waitcnt vmcnt(2)
	v_mul_f16_sdwa v8, v41, v0 dst_sel:DWORD dst_unused:UNUSED_PAD src0_sel:DWORD src1_sel:WORD_1
	v_mul_f16_sdwa v10, v52, v1 dst_sel:DWORD dst_unused:UNUSED_PAD src0_sel:DWORD src1_sel:WORD_1
	;; [unrolled: 1-line block ×3, first 2 shown]
	s_waitcnt lgkmcnt(12)
	v_mul_f16_sdwa v85, v69, v1 dst_sel:DWORD dst_unused:UNUSED_PAD src0_sel:DWORD src1_sel:WORD_1
	s_waitcnt lgkmcnt(4)
	v_mul_f16_sdwa v86, v71, v2 dst_sel:DWORD dst_unused:UNUSED_PAD src0_sel:DWORD src1_sel:WORD_1
	v_mul_f16_sdwa v18, v53, v2 dst_sel:DWORD dst_unused:UNUSED_PAD src0_sel:DWORD src1_sel:WORD_1
	;; [unrolled: 1-line block ×3, first 2 shown]
	v_fma_f16 v8, v0, v68, -v8
	v_fma_f16 v68, v1, v69, -v10
	;; [unrolled: 1-line block ×3, first 2 shown]
	v_fma_f16 v52, v52, v1, v85
	v_fma_f16 v53, v53, v2, v86
	v_mul_f16_sdwa v60, v70, v3 dst_sel:DWORD dst_unused:UNUSED_PAD src0_sel:DWORD src1_sel:WORD_1
	v_fma_f16 v18, v2, v71, -v18
	v_add_f16_e32 v11, v52, v53
	v_add_f16_e32 v87, v8, v69
	v_fma_f16 v59, v41, v0, v59
	v_fma_f16 v54, v54, v3, v60
	v_add_f16_e32 v2, v68, v18
	v_sub_f16_e32 v70, v52, v53
	v_fma_f16 v94, v11, -0.5, v42
	s_waitcnt lgkmcnt(1)
	v_fma_f16 v11, v87, -0.5, v83
	v_sub_f16_e32 v60, v59, v54
	v_sub_f16_e32 v3, v59, v52
	;; [unrolled: 1-line block ×5, first 2 shown]
	v_add_f16_e32 v90, v59, v54
	v_fma_f16 v92, v2, -0.5, v83
	v_fma_f16 v2, v70, s7, v11
	v_fma_f16 v11, v70, s4, v11
	v_sub_f16_e32 v0, v8, v68
	v_sub_f16_e32 v71, v8, v69
	;; [unrolled: 1-line block ×3, first 2 shown]
	v_add_f16_e32 v93, v3, v10
	v_add_f16_e32 v10, v41, v86
	v_fma_f16 v86, v90, -0.5, v42
	v_fma_f16 v2, v60, s5, v2
	v_fma_f16 v11, v60, s8, v11
	v_add_f16_e32 v8, v8, v83
	v_sub_f16_e32 v88, v52, v59
	v_sub_f16_e32 v89, v53, v54
	v_fma_f16 v3, v85, s4, v86
	v_fma_f16 v2, v10, s6, v2
	;; [unrolled: 1-line block ×4, first 2 shown]
	v_add_f16_e32 v8, v68, v8
	v_add_f16_e32 v41, v88, v89
	v_fma_f16 v3, v71, s8, v3
	v_fma_f16 v11, v71, s5, v11
	v_add_f16_e32 v8, v18, v8
	v_fma_f16 v3, v41, s6, v3
	v_fma_f16 v11, v41, s6, v11
	v_add_f16_e32 v41, v69, v8
	v_add_f16_e32 v8, v42, v59
	;; [unrolled: 1-line block ×4, first 2 shown]
	v_sub_f16_e32 v1, v69, v18
	v_add_f16_e32 v42, v54, v8
	v_fma_f16 v8, v60, s7, v92
	v_add_f16_e32 v91, v0, v1
	v_fma_f16 v8, v70, s8, v8
	v_fma_f16 v18, v91, s6, v8
	v_lshlrev_b32_e32 v8, 2, v17
	v_lshlrev_b64 v[52:53], 2, v[8:9]
	v_fma_f16 v0, v60, s4, v92
	v_add_co_u32_e32 v52, vcc, s12, v52
	v_addc_co_u32_e32 v53, vcc, v40, v53, vcc
	v_fma_f16 v1, v71, s7, v94
	v_fma_f16 v0, v70, s5, v0
	;; [unrolled: 1-line block ×3, first 2 shown]
	global_load_dwordx4 v[68:71], v[52:53], off offset:1512
	v_fma_f16 v8, v85, s5, v54
	s_waitcnt vmcnt(1)
	v_mul_f16_sdwa v53, v51, v58 dst_sel:DWORD dst_unused:UNUSED_PAD src0_sel:DWORD src1_sel:WORD_1
	v_fma_f16 v17, v93, s6, v8
	v_mul_f16_sdwa v8, v50, v55 dst_sel:DWORD dst_unused:UNUSED_PAD src0_sel:DWORD src1_sel:WORD_1
	v_mul_f16_sdwa v52, v48, v56 dst_sel:DWORD dst_unused:UNUSED_PAD src0_sel:DWORD src1_sel:WORD_1
	v_fma_f16 v86, v58, v74, -v53
	v_mul_f16_sdwa v53, v49, v57 dst_sel:DWORD dst_unused:UNUSED_PAD src0_sel:DWORD src1_sel:WORD_1
	v_fma_f16 v8, v55, v72, -v8
	v_fma_f16 v83, v56, v73, -v52
	;; [unrolled: 1-line block ×3, first 2 shown]
	v_sub_f16_e32 v52, v8, v83
	v_sub_f16_e32 v53, v86, v88
	v_add_f16_e32 v54, v52, v53
	v_add_f16_e32 v52, v83, v88
	s_waitcnt lgkmcnt(0)
	v_fma_f16 v90, v52, -0.5, v84
	v_mul_f16_sdwa v52, v72, v55 dst_sel:DWORD dst_unused:UNUSED_PAD src0_sel:DWORD src1_sel:WORD_1
	v_fma_f16 v72, v50, v55, v52
	v_mul_f16_sdwa v50, v74, v58 dst_sel:DWORD dst_unused:UNUSED_PAD src0_sel:DWORD src1_sel:WORD_1
	v_fma_f16 v58, v51, v58, v50
	;; [unrolled: 2-line block ×3, first 2 shown]
	v_mul_f16_sdwa v48, v75, v57 dst_sel:DWORD dst_unused:UNUSED_PAD src0_sel:DWORD src1_sel:WORD_1
	v_sub_f16_e32 v55, v72, v58
	v_fma_f16 v57, v49, v57, v48
	v_fma_f16 v50, v55, s4, v90
	v_sub_f16_e32 v56, v73, v57
	v_fma_f16 v48, v56, s5, v50
	v_sub_f16_e32 v49, v72, v73
	v_sub_f16_e32 v50, v58, v57
	v_add_f16_e32 v74, v49, v50
	v_sub_f16_e32 v50, v83, v8
	v_sub_f16_e32 v51, v88, v86
	v_add_f16_e32 v52, v50, v51
	v_add_f16_e32 v50, v8, v86
	v_fma_f16 v0, v91, s6, v0
	v_sub_f16_e32 v91, v8, v86
	v_fma_f16 v53, v50, -0.5, v84
	v_add_f16_e32 v8, v8, v84
	v_fma_f16 v50, v56, s7, v53
	v_fma_f16 v53, v56, s4, v53
	v_add_f16_e32 v8, v83, v8
	ds_read_u16 v59, v13 offset:1210
	v_fma_f16 v50, v55, s5, v50
	v_fma_f16 v53, v55, s8, v53
	;; [unrolled: 1-line block ×3, first 2 shown]
	v_add_f16_e32 v8, v88, v8
	v_fma_f16 v1, v85, s8, v1
	v_fma_f16 v55, v56, s8, v55
	v_add_f16_e32 v56, v86, v8
	v_add_f16_e32 v8, v47, v72
	v_fma_f16 v1, v93, s6, v1
	v_sub_f16_e32 v51, v73, v72
	v_sub_f16_e32 v93, v57, v58
	v_add_f16_e32 v8, v8, v73
	v_add_f16_e32 v49, v73, v57
	v_add_f16_e32 v93, v51, v93
	v_add_f16_e32 v51, v72, v58
	v_add_f16_e32 v8, v8, v57
	v_fma_f16 v75, v49, -0.5, v47
	v_fma_f16 v94, v51, -0.5, v47
	v_add_f16_e32 v47, v58, v8
	ds_read_u16 v60, v13 offset:1980
	ds_read_u16 v89, v13 offset:440
	v_sub_f16_e32 v92, v83, v88
	ds_read_u16 v88, v13 offset:1870
	ds_read_u16 v83, v13 offset:1100
	v_fma_f16 v48, v54, s6, v48
	v_fma_f16 v49, v91, s7, v75
	;; [unrolled: 1-line block ×8, first 2 shown]
	ds_read_u16 v85, v13 offset:3520
	ds_read_u16 v87, v13 offset:2750
	;; [unrolled: 1-line block ×3, first 2 shown]
	v_fma_f16 v50, v52, s6, v50
	v_fma_f16 v51, v92, s4, v94
	s_waitcnt vmcnt(0)
	v_mul_f16_sdwa v8, v45, v68 dst_sel:DWORD dst_unused:UNUSED_PAD src0_sel:DWORD src1_sel:WORD_1
	s_waitcnt lgkmcnt(7)
	v_fma_f16 v84, v68, v59, -v8
	v_lshlrev_b32_e32 v8, 2, v16
	v_lshlrev_b64 v[57:58], 2, v[8:9]
	v_mul_f16_sdwa v86, v43, v69 dst_sel:DWORD dst_unused:UNUSED_PAD src0_sel:DWORD src1_sel:WORD_1
	v_add_co_u32_e32 v57, vcc, s12, v57
	v_addc_co_u32_e32 v58, vcc, v40, v58, vcc
	global_load_dwordx4 v[72:75], v[57:58], off offset:1512
	v_mul_f16_sdwa v57, v46, v71 dst_sel:DWORD dst_unused:UNUSED_PAD src0_sel:DWORD src1_sel:WORD_1
	v_fma_f16 v52, v52, s6, v53
	v_fma_f16 v53, v92, s7, v94
	s_waitcnt lgkmcnt(6)
	v_fma_f16 v8, v69, v60, -v86
	s_waitcnt lgkmcnt(2)
	v_fma_f16 v86, v71, v85, -v57
	v_mul_f16_sdwa v57, v44, v70 dst_sel:DWORD dst_unused:UNUSED_PAD src0_sel:DWORD src1_sel:WORD_1
	v_fma_f16 v51, v91, s8, v51
	v_fma_f16 v53, v91, s5, v53
	s_waitcnt lgkmcnt(1)
	v_fma_f16 v91, v70, v87, -v57
	v_sub_f16_e32 v16, v84, v8
	v_sub_f16_e32 v57, v86, v91
	v_add_f16_e32 v58, v16, v57
	v_add_f16_e32 v16, v8, v91
	v_fma_f16 v51, v93, s6, v51
	v_fma_f16 v53, v93, s6, v53
	ds_read_u16 v92, v13 offset:330
	v_fma_f16 v93, v16, -0.5, v89
	v_mul_f16_sdwa v16, v59, v68 dst_sel:DWORD dst_unused:UNUSED_PAD src0_sel:DWORD src1_sel:WORD_1
	v_fma_f16 v68, v45, v68, v16
	v_mul_f16_sdwa v45, v60, v69 dst_sel:DWORD dst_unused:UNUSED_PAD src0_sel:DWORD src1_sel:WORD_1
	v_mul_f16_sdwa v16, v85, v71 dst_sel:DWORD dst_unused:UNUSED_PAD src0_sel:DWORD src1_sel:WORD_1
	v_fma_f16 v69, v43, v69, v45
	v_mul_f16_sdwa v43, v87, v70 dst_sel:DWORD dst_unused:UNUSED_PAD src0_sel:DWORD src1_sel:WORD_1
	v_fma_f16 v71, v46, v71, v16
	v_fma_f16 v70, v44, v70, v43
	v_sub_f16_e32 v43, v68, v69
	v_sub_f16_e32 v44, v71, v70
	v_add_f16_e32 v85, v43, v44
	v_sub_f16_e32 v44, v8, v84
	v_sub_f16_e32 v45, v91, v86
	v_add_f16_e32 v46, v44, v45
	v_add_f16_e32 v44, v84, v86
	v_sub_f16_e32 v60, v69, v70
	v_fma_f16 v57, v44, -0.5, v89
	v_sub_f16_e32 v59, v68, v71
	v_fma_f16 v44, v60, s7, v57
	v_fma_f16 v57, v60, s4, v57
	;; [unrolled: 1-line block ×8, first 2 shown]
	v_add_f16_e32 v60, v84, v89
	v_sub_f16_e32 v95, v8, v91
	v_add_f16_e32 v8, v8, v60
	v_add_f16_e32 v8, v91, v8
	;; [unrolled: 1-line block ×4, first 2 shown]
	v_sub_f16_e32 v45, v69, v68
	v_sub_f16_e32 v96, v70, v71
	v_add_f16_e32 v8, v8, v69
	v_add_f16_e32 v43, v69, v70
	;; [unrolled: 1-line block ×5, first 2 shown]
	v_fma_f16 v87, v43, -0.5, v39
	v_fma_f16 v97, v45, -0.5, v39
	v_add_f16_e32 v39, v71, v8
	v_lshlrev_b32_e32 v8, 2, v15
	v_lshlrev_b64 v[68:69], 2, v[8:9]
	v_sub_f16_e32 v94, v84, v86
	ds_read_u16 v84, v13 offset:1760
	v_fma_f16 v16, v58, s6, v16
	v_fma_f16 v43, v94, s7, v87
	v_fma_f16 v58, v58, s6, v59
	v_fma_f16 v59, v94, s4, v87
	v_fma_f16 v44, v46, s6, v44
	v_fma_f16 v45, v95, s4, v97
	v_fma_f16 v46, v46, s6, v57
	v_fma_f16 v57, v95, s7, v97
	v_add_co_u32_e32 v68, vcc, s12, v68
	v_fma_f16 v43, v95, s8, v43
	v_fma_f16 v45, v94, s8, v45
	;; [unrolled: 1-line block ×4, first 2 shown]
	v_addc_co_u32_e32 v69, vcc, v40, v69, vcc
	s_waitcnt vmcnt(0)
	v_mul_f16_sdwa v8, v37, v73 dst_sel:DWORD dst_unused:UNUSED_PAD src0_sel:DWORD src1_sel:WORD_1
	v_mul_f16_sdwa v15, v36, v72 dst_sel:DWORD dst_unused:UNUSED_PAD src0_sel:DWORD src1_sel:WORD_1
	v_fma_f16 v8, v73, v88, -v8
	v_fma_f16 v15, v72, v83, -v15
	v_mul_f16_sdwa v88, v88, v73 dst_sel:DWORD dst_unused:UNUSED_PAD src0_sel:DWORD src1_sel:WORD_1
	v_mul_f16_sdwa v83, v83, v72 dst_sel:DWORD dst_unused:UNUSED_PAD src0_sel:DWORD src1_sel:WORD_1
	v_fma_f16 v37, v37, v73, v88
	s_waitcnt lgkmcnt(2)
	v_mul_f16_sdwa v73, v90, v74 dst_sel:DWORD dst_unused:UNUSED_PAD src0_sel:DWORD src1_sel:WORD_1
	v_fma_f16 v36, v36, v72, v83
	v_mul_f16_sdwa v72, v78, v75 dst_sel:DWORD dst_unused:UNUSED_PAD src0_sel:DWORD src1_sel:WORD_1
	v_mul_f16_sdwa v87, v38, v74 dst_sel:DWORD dst_unused:UNUSED_PAD src0_sel:DWORD src1_sel:WORD_1
	;; [unrolled: 1-line block ×3, first 2 shown]
	v_fma_f16 v38, v38, v74, v73
	v_fma_f16 v35, v35, v75, v72
	v_fma_f16 v87, v74, v90, -v87
	v_fma_f16 v89, v75, v78, -v89
	v_sub_f16_e32 v78, v37, v36
	v_sub_f16_e32 v83, v38, v35
	;; [unrolled: 1-line block ×4, first 2 shown]
	v_add_f16_e32 v74, v15, v89
	ds_read_u16 v88, v13 offset:220
	v_add_f16_e32 v78, v78, v83
	v_sub_f16_e32 v83, v15, v89
	v_sub_f16_e32 v94, v15, v8
	;; [unrolled: 1-line block ×3, first 2 shown]
	s_waitcnt lgkmcnt(2)
	v_add_f16_e32 v15, v15, v92
	global_load_dwordx4 v[68:71], v[68:69], off offset:1512
	v_add_f16_e32 v86, v86, v91
	v_sub_f16_e32 v91, v8, v87
	v_add_f16_e32 v94, v94, v95
	v_add_f16_e32 v95, v8, v87
	;; [unrolled: 1-line block ×7, first 2 shown]
	v_sub_f16_e32 v73, v37, v38
	v_fma_f16 v74, v74, -0.5, v92
	v_sub_f16_e32 v97, v36, v37
	v_sub_f16_e32 v98, v35, v38
	v_add_f16_e32 v8, v8, v38
	v_sub_f16_e32 v72, v36, v35
	v_add_f16_e32 v97, v97, v98
	v_add_f16_e32 v98, v37, v38
	v_add_f16_e32 v38, v8, v35
	v_fma_f16 v8, v73, s4, v74
	v_fma_f16 v95, v95, -0.5, v92
	v_fma_f16 v8, v72, s8, v8
	v_fma_f16 v90, v73, s7, v74
	;; [unrolled: 1-line block ×10, first 2 shown]
	v_lshlrev_b32_e32 v8, 2, v14
	v_lshlrev_b64 v[14:15], 2, v[8:9]
	v_add_f16_e32 v90, v36, v35
	v_add_co_u32_e32 v14, vcc, s12, v14
	v_addc_co_u32_e32 v15, vcc, v40, v15, vcc
	v_fma_f16 v90, v90, -0.5, v34
	v_fma_f16 v98, v98, -0.5, v34
	global_load_dwordx4 v[34:37], v[14:15], off offset:1512
	v_fma_f16 v43, v85, s6, v43
	v_fma_f16 v59, v85, s6, v59
	ds_read_u16 v85, v13 offset:990
	ds_read_u16 v40, v13 offset:880
	v_fma_f16 v96, v73, s8, v96
	v_fma_f16 v73, v91, s7, v90
	;; [unrolled: 1-line block ×13, first 2 shown]
	ds_read_u16 v90, v13 offset:110
	v_fma_f16 v96, v94, s6, v96
	v_fma_f16 v99, v97, s6, v99
	ds_read_u16 v13, v13
	v_add_co_u32_e32 v6, vcc, s10, v6
	v_pack_b32_f16 v10, v11, v10
	v_pack_b32_f16 v2, v3, v2
	;; [unrolled: 1-line block ×3, first 2 shown]
	s_waitcnt vmcnt(1)
	v_mul_f16_sdwa v8, v33, v68 dst_sel:DWORD dst_unused:UNUSED_PAD src0_sel:DWORD src1_sel:WORD_1
	v_mul_f16_sdwa v73, v32, v69 dst_sel:DWORD dst_unused:UNUSED_PAD src0_sel:DWORD src1_sel:WORD_1
	;; [unrolled: 1-line block ×4, first 2 shown]
	s_waitcnt lgkmcnt(3)
	v_fma_f16 v8, v68, v85, -v8
	v_fma_f16 v73, v69, v84, -v73
	;; [unrolled: 1-line block ×4, first 2 shown]
	v_mul_f16_sdwa v85, v85, v68 dst_sel:DWORD dst_unused:UNUSED_PAD src0_sel:DWORD src1_sel:WORD_1
	v_sub_f16_e32 v78, v8, v73
	v_sub_f16_e32 v89, v83, v86
	v_fma_f16 v33, v33, v68, v85
	v_mul_f16_sdwa v68, v79, v71 dst_sel:DWORD dst_unused:UNUSED_PAD src0_sel:DWORD src1_sel:WORD_1
	v_mul_f16_sdwa v79, v84, v69 dst_sel:DWORD dst_unused:UNUSED_PAD src0_sel:DWORD src1_sel:WORD_1
	v_add_f16_e32 v78, v78, v89
	v_add_f16_e32 v89, v73, v86
	v_fma_f16 v31, v31, v71, v68
	v_fma_f16 v32, v32, v69, v79
	v_mul_f16_sdwa v69, v76, v70 dst_sel:DWORD dst_unused:UNUSED_PAD src0_sel:DWORD src1_sel:WORD_1
	v_fma_f16 v89, v89, -0.5, v88
	v_sub_f16_e32 v68, v33, v31
	v_fma_f16 v30, v30, v70, v69
	v_sub_f16_e32 v91, v73, v8
	v_sub_f16_e32 v92, v86, v83
	v_fma_f16 v71, v68, s4, v89
	v_sub_f16_e32 v69, v32, v30
	v_add_f16_e32 v91, v91, v92
	v_add_f16_e32 v92, v8, v83
	v_fma_f16 v70, v69, s5, v71
	v_sub_f16_e32 v71, v33, v32
	v_sub_f16_e32 v76, v31, v30
	v_fma_f16 v92, v92, -0.5, v88
	v_add_f16_e32 v71, v71, v76
	v_add_f16_e32 v76, v32, v30
	v_fma_f16 v94, v69, s7, v92
	v_fma_f16 v92, v69, s4, v92
	v_fma_f16 v76, v76, -0.5, v29
	v_sub_f16_e32 v79, v8, v83
	v_fma_f16 v94, v68, s5, v94
	v_fma_f16 v92, v68, s8, v92
	;; [unrolled: 1-line block ×3, first 2 shown]
	v_add_f16_e32 v8, v8, v88
	v_fma_f16 v84, v79, s7, v76
	v_sub_f16_e32 v85, v73, v86
	v_fma_f16 v68, v69, s8, v68
	v_fma_f16 v69, v79, s4, v76
	v_add_f16_e32 v8, v73, v8
	v_fma_f16 v84, v85, s8, v84
	v_fma_f16 v69, v85, s5, v69
	v_add_f16_e32 v8, v86, v8
	;; [unrolled: 3-line block ×3, first 2 shown]
	v_add_f16_e32 v8, v29, v33
	v_sub_f16_e32 v95, v32, v33
	v_sub_f16_e32 v97, v30, v31
	v_add_f16_e32 v8, v8, v32
	v_add_f16_e32 v95, v95, v97
	;; [unrolled: 1-line block ×4, first 2 shown]
	v_fma_f16 v97, v97, -0.5, v29
	v_add_f16_e32 v29, v31, v8
	s_waitcnt vmcnt(0)
	v_mul_f16_sdwa v8, v28, v34 dst_sel:DWORD dst_unused:UNUSED_PAD src0_sel:DWORD src1_sel:WORD_1
	v_mul_f16_sdwa v30, v26, v35 dst_sel:DWORD dst_unused:UNUSED_PAD src0_sel:DWORD src1_sel:WORD_1
	;; [unrolled: 1-line block ×4, first 2 shown]
	v_fma_f16 v94, v91, s6, v94
	v_fma_f16 v98, v85, s4, v97
	;; [unrolled: 1-line block ×4, first 2 shown]
	s_waitcnt lgkmcnt(2)
	v_fma_f16 v8, v34, v40, -v8
	v_fma_f16 v30, v35, v61, -v30
	;; [unrolled: 1-line block ×4, first 2 shown]
	v_fma_f16 v70, v78, s6, v70
	v_fma_f16 v98, v79, s8, v98
	;; [unrolled: 1-line block ×4, first 2 shown]
	v_mul_f16_sdwa v40, v40, v34 dst_sel:DWORD dst_unused:UNUSED_PAD src0_sel:DWORD src1_sel:WORD_1
	v_sub_f16_e32 v78, v30, v8
	v_sub_f16_e32 v79, v33, v32
	;; [unrolled: 1-line block ×4, first 2 shown]
	v_fma_f16 v28, v28, v34, v40
	v_mul_f16_sdwa v34, v80, v37 dst_sel:DWORD dst_unused:UNUSED_PAD src0_sel:DWORD src1_sel:WORD_1
	v_mul_f16_sdwa v40, v61, v35 dst_sel:DWORD dst_unused:UNUSED_PAD src0_sel:DWORD src1_sel:WORD_1
	v_sub_f16_e32 v61, v8, v32
	v_add_f16_e32 v78, v78, v79
	v_add_f16_e32 v79, v8, v32
	s_waitcnt lgkmcnt(1)
	v_add_f16_e32 v8, v8, v90
	v_add_f16_e32 v31, v31, v73
	;; [unrolled: 1-line block ×3, first 2 shown]
	v_fma_f16 v27, v27, v37, v34
	v_fma_f16 v26, v26, v35, v40
	v_mul_f16_sdwa v35, v77, v36 dst_sel:DWORD dst_unused:UNUSED_PAD src0_sel:DWORD src1_sel:WORD_1
	v_add_f16_e32 v8, v30, v8
	v_fma_f16 v73, v73, -0.5, v90
	v_sub_f16_e32 v34, v28, v27
	v_fma_f16 v25, v25, v36, v35
	v_add_f16_e32 v8, v33, v8
	v_fma_f16 v37, v34, s4, v73
	v_sub_f16_e32 v35, v26, v25
	v_sub_f16_e32 v77, v30, v33
	v_add_f16_e32 v30, v32, v8
	v_add_f16_e32 v8, v23, v28
	v_fma_f16 v36, v35, s5, v37
	v_sub_f16_e32 v37, v28, v26
	v_sub_f16_e32 v40, v27, v25
	v_sub_f16_e32 v83, v26, v28
	v_sub_f16_e32 v85, v25, v27
	v_add_f16_e32 v8, v8, v26
	v_add_f16_e32 v37, v37, v40
	v_add_f16_e32 v40, v26, v25
	v_add_f16_e32 v83, v83, v85
	v_add_f16_e32 v85, v28, v27
	v_add_f16_e32 v8, v8, v25
	v_fma_f16 v40, v40, -0.5, v23
	v_fma_f16 v85, v85, -0.5, v23
	v_add_f16_e32 v23, v27, v8
	v_fma_f16 v8, v34, s7, v73
	v_fma_f16 v8, v35, s8, v8
	;; [unrolled: 1-line block ×3, first 2 shown]
	v_fma_f16 v79, v79, -0.5, v90
	v_fma_f16 v25, v31, s6, v8
	v_fma_f16 v8, v61, s4, v40
	;; [unrolled: 1-line block ×10, first 2 shown]
	v_mul_f16_sdwa v34, v82, v64 dst_sel:DWORD dst_unused:UNUSED_PAD src0_sel:DWORD src1_sel:WORD_1
	v_mul_f16_sdwa v37, v62, v65 dst_sel:DWORD dst_unused:UNUSED_PAD src0_sel:DWORD src1_sel:WORD_1
	v_fma_f16 v36, v31, s6, v36
	v_mul_f16_sdwa v8, v22, v64 dst_sel:DWORD dst_unused:UNUSED_PAD src0_sel:DWORD src1_sel:WORD_1
	v_mul_f16_sdwa v27, v20, v65 dst_sel:DWORD dst_unused:UNUSED_PAD src0_sel:DWORD src1_sel:WORD_1
	;; [unrolled: 1-line block ×4, first 2 shown]
	v_fma_f16 v22, v22, v64, v34
	v_mul_f16_sdwa v34, v81, v67 dst_sel:DWORD dst_unused:UNUSED_PAD src0_sel:DWORD src1_sel:WORD_1
	v_fma_f16 v20, v20, v65, v37
	v_mul_f16_sdwa v37, v63, v66 dst_sel:DWORD dst_unused:UNUSED_PAD src0_sel:DWORD src1_sel:WORD_1
	v_fma_f16 v80, v78, s6, v80
	v_fma_f16 v86, v77, s4, v85
	;; [unrolled: 1-line block ×4, first 2 shown]
	v_fma_f16 v8, v64, v82, -v8
	v_fma_f16 v27, v65, v62, -v27
	;; [unrolled: 1-line block ×4, first 2 shown]
	v_fma_f16 v24, v24, v67, v34
	v_fma_f16 v21, v21, v66, v37
	;; [unrolled: 1-line block ×4, first 2 shown]
	v_sub_f16_e32 v28, v8, v27
	v_sub_f16_e32 v33, v31, v32
	;; [unrolled: 1-line block ×8, first 2 shown]
	v_add_f16_e32 v28, v28, v33
	v_add_f16_e32 v33, v27, v32
	;; [unrolled: 1-line block ×8, first 2 shown]
	s_waitcnt lgkmcnt(0)
	v_fma_f16 v33, v33, -0.5, v13
	v_fma_f16 v61, v61, -0.5, v19
	v_sub_f16_e32 v62, v8, v31
	v_fma_f16 v66, v66, -0.5, v13
	v_fma_f16 v77, v77, -0.5, v19
	v_add_f16_e32 v8, v8, v13
	v_add_f16_e32 v13, v19, v22
	v_mul_hi_u32 v19, v12, s0
	v_sub_f16_e32 v34, v22, v24
	v_sub_f16_e32 v37, v20, v21
	v_add_f16_e32 v13, v13, v20
	v_lshrrev_b32_e32 v19, 7, v19
	v_mov_b32_e32 v20, s11
	v_fma_f16 v35, v34, s4, v33
	v_fma_f16 v33, v34, s7, v33
	v_mul_u32_u24_e32 v19, 0x181, v19
	v_addc_co_u32_e32 v7, vcc, v20, v7, vcc
	v_fma_f16 v35, v37, s5, v35
	v_fma_f16 v67, v37, s7, v66
	v_fma_f16 v66, v37, s4, v66
	v_fma_f16 v33, v37, s8, v33
	v_add_f16_e32 v8, v27, v8
	v_sub_u32_e32 v19, v12, v19
	v_add_co_u32_e32 v6, vcc, v6, v4
	v_fma_f16 v35, v28, s6, v35
	v_sub_f16_e32 v64, v27, v32
	v_fma_f16 v67, v34, s5, v67
	v_fma_f16 v66, v34, s8, v66
	;; [unrolled: 1-line block ×4, first 2 shown]
	v_add_f16_e32 v8, v32, v8
	v_add_f16_e32 v13, v13, v21
	v_addc_co_u32_e32 v7, vcc, v7, v5, vcc
	v_lshlrev_b32_e32 v4, 2, v19
	v_fma_f16 v67, v65, s6, v67
	v_fma_f16 v65, v65, s6, v66
	v_fma_f16 v66, v64, s7, v77
	v_fma_f16 v33, v64, s5, v33
	v_add_f16_e32 v8, v31, v8
	v_add_f16_e32 v13, v24, v13
	v_add_co_u32_e32 v4, vcc, v6, v4
	v_fma_f16 v66, v62, s5, v66
	v_fma_f16 v33, v40, s6, v33
	v_addc_co_u32_e32 v5, vcc, 0, v7, vcc
	v_pack_b32_f16 v8, v13, v8
	v_fma_f16 v81, v64, s4, v77
	v_fma_f16 v66, v73, s6, v66
	global_store_dword v[4:5], v8, off
	v_pack_b32_f16 v8, v33, v28
	v_add_u32_e32 v13, 55, v12
	v_fma_f16 v63, v62, s7, v61
	v_fma_f16 v81, v62, s8, v81
	global_store_dword v[4:5], v8, off offset:1540
	v_pack_b32_f16 v8, v66, v65
	v_mul_hi_u32 v19, v13, s0
	v_fma_f16 v63, v64, s8, v63
	v_fma_f16 v81, v73, s6, v81
	global_store_dword v[4:5], v8, off offset:3080
	v_add_co_u32_e32 v4, vcc, s1, v4
	v_fma_f16 v63, v40, s6, v63
	v_pack_b32_f16 v8, v81, v67
	v_addc_co_u32_e32 v5, vcc, 0, v5, vcc
	global_store_dword v[4:5], v8, off offset:524
	v_pack_b32_f16 v8, v63, v35
	global_store_dword v[4:5], v8, off offset:2064
	v_lshrrev_b32_e32 v4, 7, v19
	v_mul_u32_u24_e32 v5, 0x181, v4
	v_sub_u32_e32 v5, v13, v5
	s_movk_i32 s1, 0x785
	v_mad_u32_u24 v8, v4, s1, v5
	v_lshlrev_b64 v[4:5], 2, v[8:9]
	v_pack_b32_f16 v13, v23, v30
	v_add_co_u32_e32 v4, vcc, v6, v4
	v_addc_co_u32_e32 v5, vcc, v7, v5, vcc
	global_store_dword v[4:5], v13, off
	v_add_u32_e32 v4, 0x181, v8
	v_mov_b32_e32 v5, v9
	v_lshlrev_b64 v[4:5], 2, v[4:5]
	v_pack_b32_f16 v13, v26, v25
	v_add_co_u32_e32 v4, vcc, v6, v4
	v_addc_co_u32_e32 v5, vcc, v7, v5, vcc
	global_store_dword v[4:5], v13, off
	v_add_u32_e32 v4, 0x302, v8
	v_mov_b32_e32 v5, v9
	v_lshlrev_b64 v[4:5], 2, v[4:5]
	v_fma_f16 v79, v83, s6, v79
	v_add_co_u32_e32 v4, vcc, v6, v4
	v_addc_co_u32_e32 v5, vcc, v7, v5, vcc
	v_pack_b32_f16 v13, v79, v78
	global_store_dword v[4:5], v13, off
	v_add_u32_e32 v4, 0x483, v8
	v_mov_b32_e32 v5, v9
	v_lshlrev_b64 v[4:5], 2, v[4:5]
	v_fma_f16 v86, v83, s6, v86
	v_add_co_u32_e32 v4, vcc, v6, v4
	v_addc_co_u32_e32 v5, vcc, v7, v5, vcc
	v_pack_b32_f16 v13, v86, v80
	v_add_u32_e32 v8, 0x604, v8
	global_store_dword v[4:5], v13, off
	v_lshlrev_b64 v[4:5], 2, v[8:9]
	v_add_u32_e32 v8, 0x6e, v12
	v_mul_hi_u32 v13, v8, s0
	v_add_co_u32_e32 v4, vcc, v6, v4
	v_addc_co_u32_e32 v5, vcc, v7, v5, vcc
	v_pack_b32_f16 v19, v76, v36
	global_store_dword v[4:5], v19, off
	v_lshrrev_b32_e32 v4, 7, v13
	v_mul_u32_u24_e32 v5, 0x181, v4
	v_sub_u32_e32 v5, v8, v5
	v_mad_u32_u24 v8, v4, s1, v5
	v_lshlrev_b64 v[4:5], 2, v[8:9]
	v_pack_b32_f16 v13, v29, v71
	v_add_co_u32_e32 v4, vcc, v6, v4
	v_addc_co_u32_e32 v5, vcc, v7, v5, vcc
	global_store_dword v[4:5], v13, off
	v_add_u32_e32 v4, 0x181, v8
	v_mov_b32_e32 v5, v9
	v_lshlrev_b64 v[4:5], 2, v[4:5]
	v_pack_b32_f16 v13, v69, v68
	v_add_co_u32_e32 v4, vcc, v6, v4
	v_addc_co_u32_e32 v5, vcc, v7, v5, vcc
	global_store_dword v[4:5], v13, off
	v_add_u32_e32 v4, 0x302, v8
	v_mov_b32_e32 v5, v9
	v_lshlrev_b64 v[4:5], 2, v[4:5]
	v_fma_f16 v92, v95, s6, v92
	v_add_co_u32_e32 v4, vcc, v6, v4
	v_addc_co_u32_e32 v5, vcc, v7, v5, vcc
	v_pack_b32_f16 v13, v92, v91
	global_store_dword v[4:5], v13, off
	v_add_u32_e32 v4, 0x483, v8
	v_mov_b32_e32 v5, v9
	v_lshlrev_b64 v[4:5], 2, v[4:5]
	v_fma_f16 v98, v95, s6, v98
	v_add_co_u32_e32 v4, vcc, v6, v4
	v_addc_co_u32_e32 v5, vcc, v7, v5, vcc
	v_pack_b32_f16 v13, v98, v94
	v_add_u32_e32 v8, 0x604, v8
	global_store_dword v[4:5], v13, off
	v_lshlrev_b64 v[4:5], 2, v[8:9]
	v_add_u32_e32 v8, 0xa5, v12
	v_mul_hi_u32 v13, v8, s0
	v_add_co_u32_e32 v4, vcc, v6, v4
	v_addc_co_u32_e32 v5, vcc, v7, v5, vcc
	v_pack_b32_f16 v19, v84, v70
	global_store_dword v[4:5], v19, off
	v_lshrrev_b32_e32 v4, 7, v13
	v_mul_u32_u24_e32 v5, 0x181, v4
	v_sub_u32_e32 v5, v8, v5
	v_mad_u32_u24 v8, v4, s1, v5
	v_lshlrev_b64 v[4:5], 2, v[8:9]
	v_pack_b32_f16 v13, v38, v87
	v_add_co_u32_e32 v4, vcc, v6, v4
	v_addc_co_u32_e32 v5, vcc, v7, v5, vcc
	global_store_dword v[4:5], v13, off
	v_add_u32_e32 v4, 0x181, v8
	v_mov_b32_e32 v5, v9
	v_lshlrev_b64 v[4:5], 2, v[4:5]
	v_pack_b32_f16 v13, v99, v96
	v_add_co_u32_e32 v4, vcc, v6, v4
	v_addc_co_u32_e32 v5, vcc, v7, v5, vcc
	global_store_dword v[4:5], v13, off
	v_add_u32_e32 v4, 0x302, v8
	v_mov_b32_e32 v5, v9
	v_lshlrev_b64 v[4:5], 2, v[4:5]
	v_pack_b32_f16 v13, v14, v74
	v_add_co_u32_e32 v4, vcc, v6, v4
	v_addc_co_u32_e32 v5, vcc, v7, v5, vcc
	global_store_dword v[4:5], v13, off
	v_add_u32_e32 v4, 0x483, v8
	v_mov_b32_e32 v5, v9
	v_lshlrev_b64 v[4:5], 2, v[4:5]
	v_pack_b32_f16 v13, v93, v75
	v_add_co_u32_e32 v4, vcc, v6, v4
	v_addc_co_u32_e32 v5, vcc, v7, v5, vcc
	v_add_u32_e32 v8, 0x604, v8
	global_store_dword v[4:5], v13, off
	v_lshlrev_b64 v[4:5], 2, v[8:9]
	v_add_u32_e32 v8, 0xdc, v12
	v_mul_hi_u32 v13, v8, s0
	v_add_co_u32_e32 v4, vcc, v6, v4
	v_addc_co_u32_e32 v5, vcc, v7, v5, vcc
	v_pack_b32_f16 v14, v15, v72
	global_store_dword v[4:5], v14, off
	v_lshrrev_b32_e32 v4, 7, v13
	v_mul_u32_u24_e32 v5, 0x181, v4
	v_sub_u32_e32 v5, v8, v5
	v_mad_u32_u24 v8, v4, s1, v5
	v_lshlrev_b64 v[4:5], 2, v[8:9]
	v_pack_b32_f16 v13, v39, v60
	v_add_co_u32_e32 v4, vcc, v6, v4
	v_addc_co_u32_e32 v5, vcc, v7, v5, vcc
	global_store_dword v[4:5], v13, off
	v_add_u32_e32 v4, 0x181, v8
	v_mov_b32_e32 v5, v9
	v_lshlrev_b64 v[4:5], 2, v[4:5]
	v_pack_b32_f16 v13, v59, v58
	v_add_co_u32_e32 v4, vcc, v6, v4
	v_addc_co_u32_e32 v5, vcc, v7, v5, vcc
	global_store_dword v[4:5], v13, off
	v_add_u32_e32 v4, 0x302, v8
	v_mov_b32_e32 v5, v9
	v_lshlrev_b64 v[4:5], 2, v[4:5]
	v_pack_b32_f16 v13, v57, v46
	v_add_co_u32_e32 v4, vcc, v6, v4
	v_addc_co_u32_e32 v5, vcc, v7, v5, vcc
	global_store_dword v[4:5], v13, off
	v_add_u32_e32 v4, 0x483, v8
	v_mov_b32_e32 v5, v9
	v_lshlrev_b64 v[4:5], 2, v[4:5]
	v_pack_b32_f16 v13, v45, v44
	v_add_co_u32_e32 v4, vcc, v6, v4
	v_addc_co_u32_e32 v5, vcc, v7, v5, vcc
	;; [unrolled: 38-line block ×3, first 2 shown]
	v_add_u32_e32 v8, 0x604, v8
	global_store_dword v[4:5], v13, off
	v_lshlrev_b64 v[4:5], 2, v[8:9]
	v_add_u32_e32 v8, 0x14a, v12
	v_mul_hi_u32 v12, v8, s0
	v_add_co_u32_e32 v4, vcc, v6, v4
	v_addc_co_u32_e32 v5, vcc, v7, v5, vcc
	v_pack_b32_f16 v13, v49, v48
	global_store_dword v[4:5], v13, off
	v_lshrrev_b32_e32 v4, 7, v12
	v_mul_u32_u24_e32 v5, 0x181, v4
	v_sub_u32_e32 v5, v8, v5
	v_mad_u32_u24 v8, v4, s1, v5
	v_lshlrev_b64 v[4:5], 2, v[8:9]
	v_pack_b32_f16 v12, v42, v41
	v_add_co_u32_e32 v4, vcc, v6, v4
	v_addc_co_u32_e32 v5, vcc, v7, v5, vcc
	global_store_dword v[4:5], v12, off
	v_add_u32_e32 v4, 0x181, v8
	v_mov_b32_e32 v5, v9
	v_lshlrev_b64 v[4:5], 2, v[4:5]
	v_pack_b32_f16 v12, v17, v18
	v_add_co_u32_e32 v4, vcc, v6, v4
	v_addc_co_u32_e32 v5, vcc, v7, v5, vcc
	global_store_dword v[4:5], v12, off
	v_add_u32_e32 v4, 0x302, v8
	v_mov_b32_e32 v5, v9
	v_lshlrev_b64 v[4:5], 2, v[4:5]
	v_add_co_u32_e32 v4, vcc, v6, v4
	v_addc_co_u32_e32 v5, vcc, v7, v5, vcc
	global_store_dword v[4:5], v10, off
	v_add_u32_e32 v4, 0x483, v8
	v_mov_b32_e32 v5, v9
	v_lshlrev_b64 v[4:5], 2, v[4:5]
	v_add_u32_e32 v8, 0x604, v8
	v_add_co_u32_e32 v4, vcc, v6, v4
	v_addc_co_u32_e32 v5, vcc, v7, v5, vcc
	global_store_dword v[4:5], v2, off
	v_lshlrev_b64 v[2:3], 2, v[8:9]
	v_add_co_u32_e32 v2, vcc, v6, v2
	v_addc_co_u32_e32 v3, vcc, v7, v3, vcc
	global_store_dword v[2:3], v0, off
.LBB0_23:
	s_endpgm
	.section	.rodata,"a",@progbits
	.p2align	6, 0x0
	.amdhsa_kernel fft_rtc_back_len1925_factors_7_11_5_5_wgs_55_tpt_55_halfLds_half_op_CI_CI_unitstride_sbrr_dirReg
		.amdhsa_group_segment_fixed_size 0
		.amdhsa_private_segment_fixed_size 0
		.amdhsa_kernarg_size 104
		.amdhsa_user_sgpr_count 6
		.amdhsa_user_sgpr_private_segment_buffer 1
		.amdhsa_user_sgpr_dispatch_ptr 0
		.amdhsa_user_sgpr_queue_ptr 0
		.amdhsa_user_sgpr_kernarg_segment_ptr 1
		.amdhsa_user_sgpr_dispatch_id 0
		.amdhsa_user_sgpr_flat_scratch_init 0
		.amdhsa_user_sgpr_private_segment_size 0
		.amdhsa_uses_dynamic_stack 0
		.amdhsa_system_sgpr_private_segment_wavefront_offset 0
		.amdhsa_system_sgpr_workgroup_id_x 1
		.amdhsa_system_sgpr_workgroup_id_y 0
		.amdhsa_system_sgpr_workgroup_id_z 0
		.amdhsa_system_sgpr_workgroup_info 0
		.amdhsa_system_vgpr_workitem_id 0
		.amdhsa_next_free_vgpr 160
		.amdhsa_next_free_sgpr 28
		.amdhsa_reserve_vcc 1
		.amdhsa_reserve_flat_scratch 0
		.amdhsa_float_round_mode_32 0
		.amdhsa_float_round_mode_16_64 0
		.amdhsa_float_denorm_mode_32 3
		.amdhsa_float_denorm_mode_16_64 3
		.amdhsa_dx10_clamp 1
		.amdhsa_ieee_mode 1
		.amdhsa_fp16_overflow 0
		.amdhsa_exception_fp_ieee_invalid_op 0
		.amdhsa_exception_fp_denorm_src 0
		.amdhsa_exception_fp_ieee_div_zero 0
		.amdhsa_exception_fp_ieee_overflow 0
		.amdhsa_exception_fp_ieee_underflow 0
		.amdhsa_exception_fp_ieee_inexact 0
		.amdhsa_exception_int_div_zero 0
	.end_amdhsa_kernel
	.text
.Lfunc_end0:
	.size	fft_rtc_back_len1925_factors_7_11_5_5_wgs_55_tpt_55_halfLds_half_op_CI_CI_unitstride_sbrr_dirReg, .Lfunc_end0-fft_rtc_back_len1925_factors_7_11_5_5_wgs_55_tpt_55_halfLds_half_op_CI_CI_unitstride_sbrr_dirReg
                                        ; -- End function
	.section	.AMDGPU.csdata,"",@progbits
; Kernel info:
; codeLenInByte = 26116
; NumSgprs: 32
; NumVgprs: 160
; ScratchSize: 0
; MemoryBound: 0
; FloatMode: 240
; IeeeMode: 1
; LDSByteSize: 0 bytes/workgroup (compile time only)
; SGPRBlocks: 3
; VGPRBlocks: 39
; NumSGPRsForWavesPerEU: 32
; NumVGPRsForWavesPerEU: 160
; Occupancy: 1
; WaveLimiterHint : 1
; COMPUTE_PGM_RSRC2:SCRATCH_EN: 0
; COMPUTE_PGM_RSRC2:USER_SGPR: 6
; COMPUTE_PGM_RSRC2:TRAP_HANDLER: 0
; COMPUTE_PGM_RSRC2:TGID_X_EN: 1
; COMPUTE_PGM_RSRC2:TGID_Y_EN: 0
; COMPUTE_PGM_RSRC2:TGID_Z_EN: 0
; COMPUTE_PGM_RSRC2:TIDIG_COMP_CNT: 0
	.type	__hip_cuid_f7b19f89cc371e07,@object ; @__hip_cuid_f7b19f89cc371e07
	.section	.bss,"aw",@nobits
	.globl	__hip_cuid_f7b19f89cc371e07
__hip_cuid_f7b19f89cc371e07:
	.byte	0                               ; 0x0
	.size	__hip_cuid_f7b19f89cc371e07, 1

	.ident	"AMD clang version 19.0.0git (https://github.com/RadeonOpenCompute/llvm-project roc-6.4.0 25133 c7fe45cf4b819c5991fe208aaa96edf142730f1d)"
	.section	".note.GNU-stack","",@progbits
	.addrsig
	.addrsig_sym __hip_cuid_f7b19f89cc371e07
	.amdgpu_metadata
---
amdhsa.kernels:
  - .args:
      - .actual_access:  read_only
        .address_space:  global
        .offset:         0
        .size:           8
        .value_kind:     global_buffer
      - .offset:         8
        .size:           8
        .value_kind:     by_value
      - .actual_access:  read_only
        .address_space:  global
        .offset:         16
        .size:           8
        .value_kind:     global_buffer
      - .actual_access:  read_only
        .address_space:  global
        .offset:         24
        .size:           8
        .value_kind:     global_buffer
      - .actual_access:  read_only
        .address_space:  global
        .offset:         32
        .size:           8
        .value_kind:     global_buffer
      - .offset:         40
        .size:           8
        .value_kind:     by_value
      - .actual_access:  read_only
        .address_space:  global
        .offset:         48
        .size:           8
        .value_kind:     global_buffer
      - .actual_access:  read_only
        .address_space:  global
        .offset:         56
        .size:           8
        .value_kind:     global_buffer
      - .offset:         64
        .size:           4
        .value_kind:     by_value
      - .actual_access:  read_only
        .address_space:  global
        .offset:         72
        .size:           8
        .value_kind:     global_buffer
      - .actual_access:  read_only
        .address_space:  global
        .offset:         80
        .size:           8
        .value_kind:     global_buffer
      - .actual_access:  read_only
        .address_space:  global
        .offset:         88
        .size:           8
        .value_kind:     global_buffer
      - .actual_access:  write_only
        .address_space:  global
        .offset:         96
        .size:           8
        .value_kind:     global_buffer
    .group_segment_fixed_size: 0
    .kernarg_segment_align: 8
    .kernarg_segment_size: 104
    .language:       OpenCL C
    .language_version:
      - 2
      - 0
    .max_flat_workgroup_size: 55
    .name:           fft_rtc_back_len1925_factors_7_11_5_5_wgs_55_tpt_55_halfLds_half_op_CI_CI_unitstride_sbrr_dirReg
    .private_segment_fixed_size: 0
    .sgpr_count:     32
    .sgpr_spill_count: 0
    .symbol:         fft_rtc_back_len1925_factors_7_11_5_5_wgs_55_tpt_55_halfLds_half_op_CI_CI_unitstride_sbrr_dirReg.kd
    .uniform_work_group_size: 1
    .uses_dynamic_stack: false
    .vgpr_count:     160
    .vgpr_spill_count: 0
    .wavefront_size: 64
amdhsa.target:   amdgcn-amd-amdhsa--gfx906
amdhsa.version:
  - 1
  - 2
...

	.end_amdgpu_metadata
